;; amdgpu-corpus repo=ROCm/rocFFT kind=compiled arch=gfx906 opt=O3
	.text
	.amdgcn_target "amdgcn-amd-amdhsa--gfx906"
	.amdhsa_code_object_version 6
	.protected	fft_rtc_fwd_len945_factors_3_3_3_5_7_wgs_63_tpt_63_halfLds_half_ip_CI_sbrr_dirReg ; -- Begin function fft_rtc_fwd_len945_factors_3_3_3_5_7_wgs_63_tpt_63_halfLds_half_ip_CI_sbrr_dirReg
	.globl	fft_rtc_fwd_len945_factors_3_3_3_5_7_wgs_63_tpt_63_halfLds_half_ip_CI_sbrr_dirReg
	.p2align	8
	.type	fft_rtc_fwd_len945_factors_3_3_3_5_7_wgs_63_tpt_63_halfLds_half_ip_CI_sbrr_dirReg,@function
fft_rtc_fwd_len945_factors_3_3_3_5_7_wgs_63_tpt_63_halfLds_half_ip_CI_sbrr_dirReg: ; @fft_rtc_fwd_len945_factors_3_3_3_5_7_wgs_63_tpt_63_halfLds_half_ip_CI_sbrr_dirReg
; %bb.0:
	s_load_dwordx2 s[14:15], s[4:5], 0x18
	s_load_dwordx4 s[8:11], s[4:5], 0x0
	s_load_dwordx2 s[12:13], s[4:5], 0x50
	v_mul_u32_u24_e32 v1, 0x411, v0
	v_add_u32_sdwa v5, s6, v1 dst_sel:DWORD dst_unused:UNUSED_PAD src0_sel:DWORD src1_sel:WORD_1
	s_waitcnt lgkmcnt(0)
	s_load_dwordx2 s[2:3], s[14:15], 0x0
	v_cmp_lt_u64_e64 s[0:1], s[10:11], 2
	v_mov_b32_e32 v3, 0
	v_mov_b32_e32 v1, 0
	;; [unrolled: 1-line block ×3, first 2 shown]
	s_and_b64 vcc, exec, s[0:1]
	v_mov_b32_e32 v2, 0
	s_cbranch_vccnz .LBB0_8
; %bb.1:
	s_load_dwordx2 s[0:1], s[4:5], 0x10
	s_add_u32 s6, s14, 8
	s_addc_u32 s7, s15, 0
	v_mov_b32_e32 v1, 0
	v_mov_b32_e32 v2, 0
	s_waitcnt lgkmcnt(0)
	s_add_u32 s16, s0, 8
	s_addc_u32 s17, s1, 0
	s_mov_b64 s[18:19], 1
.LBB0_2:                                ; =>This Inner Loop Header: Depth=1
	s_load_dwordx2 s[20:21], s[16:17], 0x0
                                        ; implicit-def: $vgpr7_vgpr8
	s_waitcnt lgkmcnt(0)
	v_or_b32_e32 v4, s21, v6
	v_cmp_ne_u64_e32 vcc, 0, v[3:4]
	s_and_saveexec_b64 s[0:1], vcc
	s_xor_b64 s[22:23], exec, s[0:1]
	s_cbranch_execz .LBB0_4
; %bb.3:                                ;   in Loop: Header=BB0_2 Depth=1
	v_cvt_f32_u32_e32 v4, s20
	v_cvt_f32_u32_e32 v7, s21
	s_sub_u32 s0, 0, s20
	s_subb_u32 s1, 0, s21
	v_mac_f32_e32 v4, 0x4f800000, v7
	v_rcp_f32_e32 v4, v4
	v_mul_f32_e32 v4, 0x5f7ffffc, v4
	v_mul_f32_e32 v7, 0x2f800000, v4
	v_trunc_f32_e32 v7, v7
	v_mac_f32_e32 v4, 0xcf800000, v7
	v_cvt_u32_f32_e32 v7, v7
	v_cvt_u32_f32_e32 v4, v4
	v_mul_lo_u32 v8, s0, v7
	v_mul_hi_u32 v9, s0, v4
	v_mul_lo_u32 v11, s1, v4
	v_mul_lo_u32 v10, s0, v4
	v_add_u32_e32 v8, v9, v8
	v_add_u32_e32 v8, v8, v11
	v_mul_hi_u32 v9, v4, v10
	v_mul_lo_u32 v11, v4, v8
	v_mul_hi_u32 v13, v4, v8
	v_mul_hi_u32 v12, v7, v10
	v_mul_lo_u32 v10, v7, v10
	v_mul_hi_u32 v14, v7, v8
	v_add_co_u32_e32 v9, vcc, v9, v11
	v_addc_co_u32_e32 v11, vcc, 0, v13, vcc
	v_mul_lo_u32 v8, v7, v8
	v_add_co_u32_e32 v9, vcc, v9, v10
	v_addc_co_u32_e32 v9, vcc, v11, v12, vcc
	v_addc_co_u32_e32 v10, vcc, 0, v14, vcc
	v_add_co_u32_e32 v8, vcc, v9, v8
	v_addc_co_u32_e32 v9, vcc, 0, v10, vcc
	v_add_co_u32_e32 v4, vcc, v4, v8
	v_addc_co_u32_e32 v7, vcc, v7, v9, vcc
	v_mul_lo_u32 v8, s0, v7
	v_mul_hi_u32 v9, s0, v4
	v_mul_lo_u32 v10, s1, v4
	v_mul_lo_u32 v11, s0, v4
	v_add_u32_e32 v8, v9, v8
	v_add_u32_e32 v8, v8, v10
	v_mul_lo_u32 v12, v4, v8
	v_mul_hi_u32 v13, v4, v11
	v_mul_hi_u32 v14, v4, v8
	;; [unrolled: 1-line block ×3, first 2 shown]
	v_mul_lo_u32 v11, v7, v11
	v_mul_hi_u32 v9, v7, v8
	v_add_co_u32_e32 v12, vcc, v13, v12
	v_addc_co_u32_e32 v13, vcc, 0, v14, vcc
	v_mul_lo_u32 v8, v7, v8
	v_add_co_u32_e32 v11, vcc, v12, v11
	v_addc_co_u32_e32 v10, vcc, v13, v10, vcc
	v_addc_co_u32_e32 v9, vcc, 0, v9, vcc
	v_add_co_u32_e32 v8, vcc, v10, v8
	v_addc_co_u32_e32 v9, vcc, 0, v9, vcc
	v_add_co_u32_e32 v4, vcc, v4, v8
	v_addc_co_u32_e32 v9, vcc, v7, v9, vcc
	v_mad_u64_u32 v[7:8], s[0:1], v5, v9, 0
	v_mul_hi_u32 v10, v5, v4
	v_add_co_u32_e32 v11, vcc, v10, v7
	v_addc_co_u32_e32 v12, vcc, 0, v8, vcc
	v_mad_u64_u32 v[7:8], s[0:1], v6, v4, 0
	v_mad_u64_u32 v[9:10], s[0:1], v6, v9, 0
	v_add_co_u32_e32 v4, vcc, v11, v7
	v_addc_co_u32_e32 v4, vcc, v12, v8, vcc
	v_addc_co_u32_e32 v7, vcc, 0, v10, vcc
	v_add_co_u32_e32 v4, vcc, v4, v9
	v_addc_co_u32_e32 v9, vcc, 0, v7, vcc
	v_mul_lo_u32 v10, s21, v4
	v_mul_lo_u32 v11, s20, v9
	v_mad_u64_u32 v[7:8], s[0:1], s20, v4, 0
	v_add3_u32 v8, v8, v11, v10
	v_sub_u32_e32 v10, v6, v8
	v_mov_b32_e32 v11, s21
	v_sub_co_u32_e32 v7, vcc, v5, v7
	v_subb_co_u32_e64 v10, s[0:1], v10, v11, vcc
	v_subrev_co_u32_e64 v11, s[0:1], s20, v7
	v_subbrev_co_u32_e64 v10, s[0:1], 0, v10, s[0:1]
	v_cmp_le_u32_e64 s[0:1], s21, v10
	v_cndmask_b32_e64 v12, 0, -1, s[0:1]
	v_cmp_le_u32_e64 s[0:1], s20, v11
	v_cndmask_b32_e64 v11, 0, -1, s[0:1]
	v_cmp_eq_u32_e64 s[0:1], s21, v10
	v_cndmask_b32_e64 v10, v12, v11, s[0:1]
	v_add_co_u32_e64 v11, s[0:1], 2, v4
	v_addc_co_u32_e64 v12, s[0:1], 0, v9, s[0:1]
	v_add_co_u32_e64 v13, s[0:1], 1, v4
	v_addc_co_u32_e64 v14, s[0:1], 0, v9, s[0:1]
	v_subb_co_u32_e32 v8, vcc, v6, v8, vcc
	v_cmp_ne_u32_e64 s[0:1], 0, v10
	v_cmp_le_u32_e32 vcc, s21, v8
	v_cndmask_b32_e64 v10, v14, v12, s[0:1]
	v_cndmask_b32_e64 v12, 0, -1, vcc
	v_cmp_le_u32_e32 vcc, s20, v7
	v_cndmask_b32_e64 v7, 0, -1, vcc
	v_cmp_eq_u32_e32 vcc, s21, v8
	v_cndmask_b32_e32 v7, v12, v7, vcc
	v_cmp_ne_u32_e32 vcc, 0, v7
	v_cndmask_b32_e64 v7, v13, v11, s[0:1]
	v_cndmask_b32_e32 v8, v9, v10, vcc
	v_cndmask_b32_e32 v7, v4, v7, vcc
.LBB0_4:                                ;   in Loop: Header=BB0_2 Depth=1
	s_andn2_saveexec_b64 s[0:1], s[22:23]
	s_cbranch_execz .LBB0_6
; %bb.5:                                ;   in Loop: Header=BB0_2 Depth=1
	v_cvt_f32_u32_e32 v4, s20
	s_sub_i32 s22, 0, s20
	v_rcp_iflag_f32_e32 v4, v4
	v_mul_f32_e32 v4, 0x4f7ffffe, v4
	v_cvt_u32_f32_e32 v4, v4
	v_mul_lo_u32 v7, s22, v4
	v_mul_hi_u32 v7, v4, v7
	v_add_u32_e32 v4, v4, v7
	v_mul_hi_u32 v4, v5, v4
	v_mul_lo_u32 v7, v4, s20
	v_add_u32_e32 v8, 1, v4
	v_sub_u32_e32 v7, v5, v7
	v_subrev_u32_e32 v9, s20, v7
	v_cmp_le_u32_e32 vcc, s20, v7
	v_cndmask_b32_e32 v7, v7, v9, vcc
	v_cndmask_b32_e32 v4, v4, v8, vcc
	v_add_u32_e32 v8, 1, v4
	v_cmp_le_u32_e32 vcc, s20, v7
	v_cndmask_b32_e32 v7, v4, v8, vcc
	v_mov_b32_e32 v8, v3
.LBB0_6:                                ;   in Loop: Header=BB0_2 Depth=1
	s_or_b64 exec, exec, s[0:1]
	v_mul_lo_u32 v4, v8, s20
	v_mul_lo_u32 v11, v7, s21
	v_mad_u64_u32 v[9:10], s[0:1], v7, s20, 0
	s_load_dwordx2 s[0:1], s[6:7], 0x0
	s_add_u32 s18, s18, 1
	v_add3_u32 v4, v10, v11, v4
	v_sub_co_u32_e32 v5, vcc, v5, v9
	v_subb_co_u32_e32 v4, vcc, v6, v4, vcc
	s_waitcnt lgkmcnt(0)
	v_mul_lo_u32 v4, s0, v4
	v_mul_lo_u32 v6, s1, v5
	v_mad_u64_u32 v[1:2], s[0:1], s0, v5, v[1:2]
	s_addc_u32 s19, s19, 0
	s_add_u32 s6, s6, 8
	v_add3_u32 v2, v6, v2, v4
	v_mov_b32_e32 v4, s10
	v_mov_b32_e32 v5, s11
	s_addc_u32 s7, s7, 0
	v_cmp_ge_u64_e32 vcc, s[18:19], v[4:5]
	s_add_u32 s16, s16, 8
	s_addc_u32 s17, s17, 0
	s_cbranch_vccnz .LBB0_9
; %bb.7:                                ;   in Loop: Header=BB0_2 Depth=1
	v_mov_b32_e32 v5, v7
	v_mov_b32_e32 v6, v8
	s_branch .LBB0_2
.LBB0_8:
	v_mov_b32_e32 v8, v6
	v_mov_b32_e32 v7, v5
.LBB0_9:
	s_lshl_b64 s[0:1], s[10:11], 3
	s_add_u32 s0, s14, s0
	s_addc_u32 s1, s15, s1
	s_load_dwordx2 s[6:7], s[0:1], 0x0
	s_load_dwordx2 s[10:11], s[4:5], 0x20
                                        ; implicit-def: $vgpr14
                                        ; implicit-def: $vgpr15
	s_waitcnt lgkmcnt(0)
	v_mad_u64_u32 v[1:2], s[0:1], s6, v7, v[1:2]
	s_mov_b32 s0, 0x4104105
	v_mul_lo_u32 v3, s6, v8
	v_mul_lo_u32 v4, s7, v7
	v_mul_hi_u32 v5, v0, s0
	v_cmp_gt_u64_e32 vcc, s[10:11], v[7:8]
	v_cmp_le_u64_e64 s[0:1], s[10:11], v[7:8]
	v_add3_u32 v2, v4, v2, v3
	v_mul_u32_u24_e32 v3, 63, v5
	v_sub_u32_e32 v4, v0, v3
	v_add_u32_e32 v6, 63, v4
                                        ; implicit-def: $vgpr3
                                        ; implicit-def: $vgpr5
	s_and_saveexec_b64 s[4:5], s[0:1]
	s_xor_b64 s[0:1], exec, s[4:5]
; %bb.10:
	v_add_u32_e32 v3, 63, v4
	v_add_u32_e32 v5, 0x7e, v4
	;; [unrolled: 1-line block ×4, first 2 shown]
; %bb.11:
	s_or_saveexec_b64 s[4:5], s[0:1]
	v_lshlrev_b64 v[0:1], 2, v[1:2]
                                        ; implicit-def: $vgpr13
                                        ; implicit-def: $vgpr8
                                        ; implicit-def: $vgpr17
                                        ; implicit-def: $vgpr9
                                        ; implicit-def: $vgpr37
                                        ; implicit-def: $vgpr10
                                        ; implicit-def: $vgpr27
                                        ; implicit-def: $vgpr18
                                        ; implicit-def: $vgpr26
                                        ; implicit-def: $vgpr16
                                        ; implicit-def: $vgpr31
                                        ; implicit-def: $vgpr21
                                        ; implicit-def: $vgpr25
                                        ; implicit-def: $vgpr11
                                        ; implicit-def: $vgpr32
                                        ; implicit-def: $vgpr22
                                        ; implicit-def: $vgpr28
                                        ; implicit-def: $vgpr23
                                        ; implicit-def: $vgpr29
                                        ; implicit-def: $vgpr20
                                        ; implicit-def: $vgpr30
                                        ; implicit-def: $vgpr12
                                        ; implicit-def: $vgpr33
                                        ; implicit-def: $vgpr24
                                        ; implicit-def: $vgpr34
                                        ; implicit-def: $vgpr2
                                        ; implicit-def: $vgpr36
                                        ; implicit-def: $vgpr19
                                        ; implicit-def: $vgpr35
                                        ; implicit-def: $vgpr7
	s_xor_b64 exec, exec, s[4:5]
	s_cbranch_execz .LBB0_13
; %bb.12:
	v_mad_u64_u32 v[2:3], s[0:1], s2, v4, 0
	v_add_u32_e32 v10, 0x13b, v4
	v_mov_b32_e32 v5, s13
	v_mad_u64_u32 v[7:8], s[0:1], s3, v4, v[3:4]
	v_mad_u64_u32 v[8:9], s[0:1], s2, v10, 0
	v_add_co_u32_e64 v17, s[0:1], s12, v0
	v_addc_co_u32_e64 v38, s[0:1], v5, v1, s[0:1]
	v_mov_b32_e32 v5, v9
	v_mov_b32_e32 v3, v7
	v_mad_u64_u32 v[9:10], s[0:1], s3, v10, v[5:6]
	v_add_u32_e32 v7, 0x276, v4
	v_mad_u64_u32 v[10:11], s[0:1], s2, v7, 0
	v_lshlrev_b64 v[2:3], 2, v[2:3]
	v_add_u32_e32 v14, 0x2b5, v4
	v_add_co_u32_e64 v12, s[0:1], v17, v2
	v_mov_b32_e32 v5, v11
	v_addc_co_u32_e64 v13, s[0:1], v38, v3, s[0:1]
	v_lshlrev_b64 v[2:3], 2, v[8:9]
	v_mad_u64_u32 v[7:8], s[0:1], s3, v7, v[5:6]
	v_mad_u64_u32 v[8:9], s[0:1], s2, v6, 0
	v_add_co_u32_e64 v20, s[0:1], v17, v2
	v_mov_b32_e32 v11, v7
	v_mov_b32_e32 v5, v9
	v_addc_co_u32_e64 v21, s[0:1], v38, v3, s[0:1]
	v_lshlrev_b64 v[2:3], 2, v[10:11]
	v_mad_u64_u32 v[9:10], s[0:1], s3, v6, v[5:6]
	v_add_u32_e32 v7, 0x17a, v4
	v_mad_u64_u32 v[10:11], s[0:1], s2, v7, 0
	v_add_co_u32_e64 v22, s[0:1], v17, v2
	v_mov_b32_e32 v5, v11
	v_addc_co_u32_e64 v23, s[0:1], v38, v3, s[0:1]
	v_lshlrev_b64 v[2:3], 2, v[8:9]
	v_mad_u64_u32 v[7:8], s[0:1], s3, v7, v[5:6]
	v_mad_u64_u32 v[8:9], s[0:1], s2, v14, 0
	v_add_co_u32_e64 v24, s[0:1], v17, v2
	v_mov_b32_e32 v11, v7
	v_mov_b32_e32 v5, v9
	v_addc_co_u32_e64 v25, s[0:1], v38, v3, s[0:1]
	v_lshlrev_b64 v[2:3], 2, v[10:11]
	v_mad_u64_u32 v[9:10], s[0:1], s3, v14, v[5:6]
	v_add_u32_e32 v5, 0x7e, v4
	v_mad_u64_u32 v[10:11], s[0:1], s2, v5, 0
	v_add_co_u32_e64 v26, s[0:1], v17, v2
	v_mov_b32_e32 v7, v11
	v_addc_co_u32_e64 v27, s[0:1], v38, v3, s[0:1]
	v_lshlrev_b64 v[2:3], 2, v[8:9]
	v_mad_u64_u32 v[7:8], s[0:1], s3, v5, v[7:8]
	v_add_u32_e32 v14, 0x1b9, v4
	v_mad_u64_u32 v[8:9], s[0:1], s2, v14, 0
	v_add_co_u32_e64 v28, s[0:1], v17, v2
	v_mov_b32_e32 v11, v7
	v_mov_b32_e32 v7, v9
	v_addc_co_u32_e64 v29, s[0:1], v38, v3, s[0:1]
	v_lshlrev_b64 v[2:3], 2, v[10:11]
	v_mad_u64_u32 v[9:10], s[0:1], s3, v14, v[7:8]
	v_add_co_u32_e64 v30, s[0:1], v17, v2
	v_addc_co_u32_e64 v31, s[0:1], v38, v3, s[0:1]
	v_lshlrev_b64 v[2:3], 2, v[8:9]
	v_add_u32_e32 v7, 0x2f4, v4
	v_mad_u64_u32 v[32:33], s[0:1], s2, v7, 0
	v_add_co_u32_e64 v34, s[0:1], v17, v2
	v_add_u32_e32 v14, 0xbd, v4
	v_addc_co_u32_e64 v35, s[0:1], v38, v3, s[0:1]
	v_mad_u64_u32 v[36:37], s[0:1], s2, v14, 0
	v_mov_b32_e32 v2, v33
	v_mad_u64_u32 v[15:16], s[0:1], s3, v7, v[2:3]
	v_mov_b32_e32 v3, v37
	global_load_dword v8, v[12:13], off
	global_load_dword v9, v[20:21], off
	;; [unrolled: 1-line block ×8, first 2 shown]
	v_mad_u64_u32 v[20:21], s[0:1], s3, v14, v[3:4]
	v_add_u32_e32 v13, 0x1f8, v4
	v_mad_u64_u32 v[21:22], s[0:1], s2, v13, 0
	v_mov_b32_e32 v33, v15
	v_lshlrev_b64 v[11:12], 2, v[32:33]
	v_mov_b32_e32 v3, v22
	v_add_co_u32_e64 v25, s[0:1], v17, v11
	v_addc_co_u32_e64 v26, s[0:1], v38, v12, s[0:1]
	v_mad_u64_u32 v[22:23], s[0:1], s3, v13, v[3:4]
	v_add_u32_e32 v13, 0x333, v4
	v_mad_u64_u32 v[23:24], s[0:1], s2, v13, 0
	v_mov_b32_e32 v37, v20
	v_lshlrev_b64 v[11:12], 2, v[36:37]
	v_mov_b32_e32 v3, v24
	v_add_co_u32_e64 v27, s[0:1], v17, v11
	v_addc_co_u32_e64 v28, s[0:1], v38, v12, s[0:1]
	v_lshlrev_b64 v[11:12], 2, v[21:22]
	v_mad_u64_u32 v[20:21], s[0:1], s3, v13, v[3:4]
	v_add_u32_e32 v15, 0xfc, v4
	v_mad_u64_u32 v[21:22], s[0:1], s2, v15, 0
	v_add_co_u32_e64 v29, s[0:1], v17, v11
	v_mov_b32_e32 v24, v20
	v_mov_b32_e32 v3, v22
	v_addc_co_u32_e64 v30, s[0:1], v38, v12, s[0:1]
	v_lshlrev_b64 v[11:12], 2, v[23:24]
	v_mad_u64_u32 v[22:23], s[0:1], s3, v15, v[3:4]
	v_add_u32_e32 v13, 0x237, v4
	v_mad_u64_u32 v[23:24], s[0:1], s2, v13, 0
	v_add_co_u32_e64 v31, s[0:1], v17, v11
	v_mov_b32_e32 v3, v24
	v_addc_co_u32_e64 v32, s[0:1], v38, v12, s[0:1]
	v_lshlrev_b64 v[11:12], 2, v[21:22]
	v_mad_u64_u32 v[20:21], s[0:1], s3, v13, v[3:4]
	v_add_u32_e32 v13, 0x372, v4
	v_mad_u64_u32 v[21:22], s[0:1], s2, v13, 0
	v_add_co_u32_e64 v33, s[0:1], v17, v11
	v_mov_b32_e32 v24, v20
	v_mov_b32_e32 v3, v22
	v_addc_co_u32_e64 v34, s[0:1], v38, v12, s[0:1]
	v_lshlrev_b64 v[11:12], 2, v[23:24]
	v_mad_u64_u32 v[22:23], s[0:1], s3, v13, v[3:4]
	v_add_co_u32_e64 v35, s[0:1], v17, v11
	v_addc_co_u32_e64 v36, s[0:1], v38, v12, s[0:1]
	v_lshlrev_b64 v[11:12], 2, v[21:22]
	v_mov_b32_e32 v3, v6
	v_add_co_u32_e64 v37, s[0:1], v17, v11
	v_addc_co_u32_e64 v38, s[0:1], v38, v12, s[0:1]
	global_load_dword v21, v[25:26], off
	global_load_dword v11, v[27:28], off
	;; [unrolled: 1-line block ×7, first 2 shown]
	s_waitcnt vmcnt(14)
	v_lshrrev_b32_e32 v13, 16, v8
	s_waitcnt vmcnt(13)
	v_lshrrev_b32_e32 v17, 16, v9
	;; [unrolled: 2-line block ×15, first 2 shown]
.LBB0_13:
	s_or_b64 exec, exec, s[4:5]
	v_add_f16_e32 v38, v9, v10
	v_fma_f16 v38, v38, -0.5, v8
	s_movk_i32 s0, 0x3aee
	s_mov_b32 s1, 0xbaee
	v_sub_f16_e32 v39, v17, v37
	v_fma_f16 v40, v39, s0, v38
	v_fma_f16 v38, v39, s1, v38
	v_add_f16_e32 v39, v13, v17
	v_add_f16_e32 v17, v17, v37
	v_fma_f16 v13, v17, -0.5, v13
	v_add_f16_e32 v8, v8, v9
	v_sub_f16_e32 v9, v9, v10
	v_add_f16_e32 v39, v39, v37
	v_fma_f16 v37, v9, s1, v13
	v_fma_f16 v41, v9, s0, v13
	v_add_f16_e32 v9, v18, v19
	v_add_f16_e32 v8, v8, v10
	v_fma_f16 v9, v9, -0.5, v7
	v_sub_f16_e32 v10, v27, v36
	v_fma_f16 v13, v10, s0, v9
	v_fma_f16 v9, v10, s1, v9
	v_add_f16_e32 v10, v16, v21
	v_fma_f16 v10, v10, -0.5, v2
	v_sub_f16_e32 v17, v26, v31
	v_fma_f16 v42, v17, s0, v10
	v_fma_f16 v10, v17, s1, v10
	;; [unrolled: 5-line block ×4, first 2 shown]
	v_mad_u32_u24 v45, v4, 6, 0
	v_add_f16_e32 v7, v18, v7
	ds_write_b16 v45, v8
	ds_write_b16 v45, v40 offset:2
	ds_write_b16 v45, v38 offset:4
	v_add_f16_e32 v8, v19, v7
	v_mad_i32_i24 v7, v3, 6, 0
	v_add_f16_e32 v2, v16, v2
	ds_write_b16 v7, v8
	ds_write_b16 v7, v13 offset:2
	ds_write_b16 v7, v9 offset:4
	v_add_f16_e32 v2, v21, v2
	v_mad_i32_i24 v8, v5, 6, 0
	ds_write_b16 v8, v2
	ds_write_b16 v8, v42 offset:2
	ds_write_b16 v8, v10 offset:4
	v_add_f16_e32 v2, v11, v24
	v_add_f16_e32 v2, v22, v2
	v_mad_i32_i24 v38, v14, 6, 0
	ds_write_b16 v38, v2
	ds_write_b16 v38, v44 offset:2
	v_add_f16_e32 v2, v20, v12
	v_add_f16_e32 v2, v23, v2
	v_mad_i32_i24 v40, v15, 6, 0
	v_lshlrev_b32_e32 v9, 2, v14
	ds_write_b16 v38, v17 offset:4
	ds_write_b16 v40, v2
	ds_write_b16 v40, v46 offset:2
	ds_write_b16 v40, v43 offset:4
	v_lshlrev_b32_e32 v2, 2, v4
	v_sub_u32_e32 v13, v38, v9
	v_lshlrev_b32_e32 v9, 2, v15
	v_sub_u32_e32 v2, v45, v2
	v_sub_u32_e32 v17, v40, v9
	v_lshlrev_b32_e32 v9, 2, v3
	v_lshlrev_b32_e32 v10, 2, v5
	s_waitcnt lgkmcnt(0)
	; wave barrier
	s_waitcnt lgkmcnt(0)
	v_sub_u32_e32 v11, v7, v9
	v_sub_u32_e32 v12, v8, v10
	ds_read_u16 v42, v2
	ds_read_u16 v43, v2 offset:630
	ds_read_u16 v44, v2 offset:756
	;; [unrolled: 1-line block ×6, first 2 shown]
	ds_read_u16 v50, v13
	ds_read_u16 v51, v17
	ds_read_u16 v52, v2 offset:1386
	ds_read_u16 v53, v2 offset:1260
	;; [unrolled: 1-line block ×3, first 2 shown]
	ds_read_u16 v55, v12
	ds_read_u16 v56, v11
	ds_read_u16 v57, v2 offset:1764
	s_waitcnt lgkmcnt(0)
	; wave barrier
	s_waitcnt lgkmcnt(0)
	ds_write_b16 v45, v39
	ds_write_b16 v45, v37 offset:2
	ds_write_b16 v45, v41 offset:4
	v_add_f16_e32 v37, v27, v35
	v_add_f16_e32 v27, v27, v36
	v_fma_f16 v27, v27, -0.5, v35
	v_sub_f16_e32 v18, v18, v19
	v_fma_f16 v19, v18, s1, v27
	v_fma_f16 v18, v18, s0, v27
	v_add_f16_e32 v27, v26, v34
	v_add_f16_e32 v26, v26, v31
	;; [unrolled: 1-line block ×3, first 2 shown]
	v_fma_f16 v26, v26, -0.5, v34
	v_sub_f16_e32 v16, v16, v21
	v_add_f16_e32 v31, v32, v33
	v_fma_f16 v21, v16, s1, v26
	v_fma_f16 v16, v16, s0, v26
	v_add_f16_e32 v26, v25, v33
	v_fma_f16 v25, v31, -0.5, v25
	v_sub_f16_e32 v22, v24, v22
	v_fma_f16 v24, v22, s1, v25
	v_fma_f16 v22, v22, s0, v25
	v_add_f16_e32 v25, v29, v30
	v_add_f16_e32 v25, v28, v25
	;; [unrolled: 1-line block ×4, first 2 shown]
	v_fma_f16 v28, v28, -0.5, v30
	v_sub_f16_e32 v20, v20, v23
	s_movk_i32 s4, 0xab
	v_add_f16_e32 v26, v32, v26
	v_fma_f16 v23, v20, s1, v28
	v_fma_f16 v20, v20, s0, v28
	ds_write_b16 v7, v37
	ds_write_b16 v7, v19 offset:2
	ds_write_b16 v7, v18 offset:4
	ds_write_b16 v8, v27
	ds_write_b16 v8, v21 offset:2
	ds_write_b16 v8, v16 offset:4
	;; [unrolled: 3-line block ×4, first 2 shown]
	v_mul_lo_u16_sdwa v16, v4, s4 dst_sel:DWORD dst_unused:UNUSED_PAD src0_sel:BYTE_0 src1_sel:DWORD
	v_lshrrev_b16_e32 v28, 9, v16
	v_mul_lo_u16_e32 v16, 3, v28
	v_sub_u16_e32 v29, v4, v16
	v_mov_b32_e32 v30, 3
	v_lshlrev_b32_sdwa v16, v30, v29 dst_sel:DWORD dst_unused:UNUSED_PAD src0_sel:DWORD src1_sel:BYTE_0
	s_waitcnt lgkmcnt(0)
	; wave barrier
	s_waitcnt lgkmcnt(0)
	global_load_dwordx2 v[18:19], v16, s[8:9]
	v_mul_lo_u16_sdwa v16, v3, s4 dst_sel:DWORD dst_unused:UNUSED_PAD src0_sel:BYTE_0 src1_sel:DWORD
	v_lshrrev_b16_e32 v31, 9, v16
	v_mul_lo_u16_e32 v16, 3, v31
	v_sub_u16_e32 v32, v3, v16
	v_lshlrev_b32_sdwa v16, v30, v32 dst_sel:DWORD dst_unused:UNUSED_PAD src0_sel:DWORD src1_sel:BYTE_0
	global_load_dwordx2 v[20:21], v16, s[8:9]
	v_mul_lo_u16_sdwa v16, v5, s4 dst_sel:DWORD dst_unused:UNUSED_PAD src0_sel:BYTE_0 src1_sel:DWORD
	v_lshrrev_b16_e32 v33, 9, v16
	v_mul_lo_u16_e32 v16, 3, v33
	v_sub_u16_e32 v34, v5, v16
	v_lshlrev_b32_sdwa v16, v30, v34 dst_sel:DWORD dst_unused:UNUSED_PAD src0_sel:DWORD src1_sel:BYTE_0
	;; [unrolled: 6-line block ×3, first 2 shown]
	s_mov_b32 s4, 0xaaab
	global_load_dwordx2 v[24:25], v16, s[8:9]
	v_mul_u32_u24_sdwa v16, v15, s4 dst_sel:DWORD dst_unused:UNUSED_PAD src0_sel:WORD_0 src1_sel:DWORD
	v_lshrrev_b32_e32 v37, 17, v16
	v_mul_lo_u16_e32 v16, 3, v37
	v_sub_u16_e32 v38, v15, v16
	v_lshlrev_b32_e32 v16, 3, v38
	global_load_dwordx2 v[26:27], v16, s[8:9]
	ds_read_u16 v16, v2 offset:1386
	ds_read_u16 v39, v2 offset:630
	ds_read_u16 v40, v2 offset:756
	ds_read_u16 v41, v2 offset:882
	ds_read_u16 v45, v2 offset:1008
	ds_read_u16 v58, v2 offset:1260
	ds_read_u16 v59, v2 offset:1134
	ds_read_u16 v60, v2
	v_mul_u32_u24_e32 v28, 18, v28
	s_mov_b32 s4, 0xe38f
	s_movk_i32 s10, 0x3b9c
	s_mov_b32 s11, 0xbb9c
	s_movk_i32 s6, 0x38b4
	;; [unrolled: 2-line block ×3, first 2 shown]
	v_sub_u32_e32 v10, 0, v10
	s_waitcnt vmcnt(4) lgkmcnt(6)
	v_mul_f16_sdwa v61, v39, v18 dst_sel:DWORD dst_unused:UNUSED_PAD src0_sel:DWORD src1_sel:WORD_1
	v_fma_f16 v61, v43, v18, -v61
	v_mul_f16_sdwa v43, v43, v18 dst_sel:DWORD dst_unused:UNUSED_PAD src0_sel:DWORD src1_sel:WORD_1
	v_fma_f16 v18, v39, v18, v43
	s_waitcnt lgkmcnt(2)
	v_mul_f16_sdwa v39, v58, v19 dst_sel:DWORD dst_unused:UNUSED_PAD src0_sel:DWORD src1_sel:WORD_1
	v_mul_f16_sdwa v43, v53, v19 dst_sel:DWORD dst_unused:UNUSED_PAD src0_sel:DWORD src1_sel:WORD_1
	v_fma_f16 v39, v53, v19, -v39
	v_fma_f16 v19, v58, v19, v43
	s_waitcnt vmcnt(3)
	v_mul_f16_sdwa v43, v40, v20 dst_sel:DWORD dst_unused:UNUSED_PAD src0_sel:DWORD src1_sel:WORD_1
	v_fma_f16 v43, v44, v20, -v43
	v_mul_f16_sdwa v44, v44, v20 dst_sel:DWORD dst_unused:UNUSED_PAD src0_sel:DWORD src1_sel:WORD_1
	v_fma_f16 v20, v40, v20, v44
	v_mul_f16_sdwa v40, v16, v21 dst_sel:DWORD dst_unused:UNUSED_PAD src0_sel:DWORD src1_sel:WORD_1
	v_mul_f16_sdwa v44, v52, v21 dst_sel:DWORD dst_unused:UNUSED_PAD src0_sel:DWORD src1_sel:WORD_1
	v_fma_f16 v40, v52, v21, -v40
	v_fma_f16 v21, v16, v21, v44
	s_waitcnt vmcnt(2)
	v_mul_f16_sdwa v16, v41, v22 dst_sel:DWORD dst_unused:UNUSED_PAD src0_sel:DWORD src1_sel:WORD_1
	v_fma_f16 v44, v46, v22, -v16
	v_mul_f16_sdwa v16, v46, v22 dst_sel:DWORD dst_unused:UNUSED_PAD src0_sel:DWORD src1_sel:WORD_1
	v_fma_f16 v22, v41, v22, v16
	ds_read_u16 v16, v2 offset:1512
	ds_read_u16 v41, v2 offset:1638
	;; [unrolled: 1-line block ×3, first 2 shown]
	ds_read_u16 v52, v13
	ds_read_u16 v53, v17
	;; [unrolled: 1-line block ×4, first 2 shown]
	s_waitcnt lgkmcnt(6)
	v_mul_f16_sdwa v63, v16, v23 dst_sel:DWORD dst_unused:UNUSED_PAD src0_sel:DWORD src1_sel:WORD_1
	v_fma_f16 v63, v48, v23, -v63
	v_mul_f16_sdwa v48, v48, v23 dst_sel:DWORD dst_unused:UNUSED_PAD src0_sel:DWORD src1_sel:WORD_1
	v_fma_f16 v23, v16, v23, v48
	s_waitcnt vmcnt(1)
	v_mul_f16_sdwa v16, v45, v24 dst_sel:DWORD dst_unused:UNUSED_PAD src0_sel:DWORD src1_sel:WORD_1
	v_fma_f16 v48, v47, v24, -v16
	v_mul_f16_sdwa v16, v47, v24 dst_sel:DWORD dst_unused:UNUSED_PAD src0_sel:DWORD src1_sel:WORD_1
	v_fma_f16 v24, v45, v24, v16
	s_waitcnt lgkmcnt(5)
	v_mul_f16_sdwa v16, v41, v25 dst_sel:DWORD dst_unused:UNUSED_PAD src0_sel:DWORD src1_sel:WORD_1
	v_fma_f16 v45, v49, v25, -v16
	v_mul_f16_sdwa v16, v49, v25 dst_sel:DWORD dst_unused:UNUSED_PAD src0_sel:DWORD src1_sel:WORD_1
	v_fma_f16 v25, v41, v25, v16
	s_waitcnt vmcnt(0)
	v_mul_f16_sdwa v16, v59, v26 dst_sel:DWORD dst_unused:UNUSED_PAD src0_sel:DWORD src1_sel:WORD_1
	v_fma_f16 v41, v54, v26, -v16
	v_mul_f16_sdwa v16, v54, v26 dst_sel:DWORD dst_unused:UNUSED_PAD src0_sel:DWORD src1_sel:WORD_1
	v_fma_f16 v26, v59, v26, v16
	s_waitcnt lgkmcnt(4)
	v_mul_f16_sdwa v16, v46, v27 dst_sel:DWORD dst_unused:UNUSED_PAD src0_sel:DWORD src1_sel:WORD_1
	v_fma_f16 v47, v57, v27, -v16
	v_mul_f16_sdwa v16, v57, v27 dst_sel:DWORD dst_unused:UNUSED_PAD src0_sel:DWORD src1_sel:WORD_1
	v_fma_f16 v27, v46, v27, v16
	v_add_f16_e32 v16, v61, v39
	v_fma_f16 v16, v16, -0.5, v42
	v_sub_f16_e32 v46, v18, v19
	v_fma_f16 v49, v46, s0, v16
	v_fma_f16 v46, v46, s1, v16
	v_add_f16_e32 v16, v60, v18
	v_add_f16_e32 v54, v16, v19
	;; [unrolled: 1-line block ×3, first 2 shown]
	v_fma_f16 v16, v16, -0.5, v60
	v_add_f16_e32 v18, v42, v61
	v_sub_f16_e32 v19, v61, v39
	v_add_f16_e32 v18, v18, v39
	v_fma_f16 v39, v19, s1, v16
	v_fma_f16 v19, v19, s0, v16
	v_add_f16_e32 v16, v43, v40
	v_fma_f16 v16, v16, -0.5, v56
	v_sub_f16_e32 v42, v20, v21
	v_fma_f16 v57, v42, s0, v16
	v_fma_f16 v42, v42, s1, v16
	v_add_f16_e32 v16, v44, v63
	v_fma_f16 v16, v16, -0.5, v55
	v_sub_f16_e32 v59, v22, v23
	;; [unrolled: 5-line block ×4, first 2 shown]
	v_fma_f16 v66, v65, s0, v16
	v_fma_f16 v65, v65, s1, v16
	v_mov_b32_e32 v16, 1
	v_lshlrev_b32_sdwa v29, v16, v29 dst_sel:DWORD dst_unused:UNUSED_PAD src0_sel:DWORD src1_sel:BYTE_0
	v_add3_u32 v28, 0, v28, v29
	s_waitcnt lgkmcnt(0)
	; wave barrier
	s_waitcnt lgkmcnt(0)
	ds_write_b16 v28, v18
	ds_write_b16 v28, v49 offset:6
	ds_write_b16 v28, v46 offset:12
	v_lshlrev_b32_sdwa v18, v16, v32 dst_sel:DWORD dst_unused:UNUSED_PAD src0_sel:DWORD src1_sel:BYTE_0
	v_mul_u32_u24_e32 v29, 18, v31
	v_add3_u32 v18, 0, v29, v18
	v_add_f16_e32 v29, v56, v43
	v_add_f16_e32 v29, v29, v40
	ds_write_b16 v18, v29
	ds_write_b16 v18, v57 offset:6
	ds_write_b16 v18, v42 offset:12
	v_lshlrev_b32_sdwa v29, v16, v34 dst_sel:DWORD dst_unused:UNUSED_PAD src0_sel:DWORD src1_sel:BYTE_0
	v_mul_u32_u24_e32 v31, 18, v33
	v_add3_u32 v29, 0, v31, v29
	v_add_f16_e32 v31, v55, v44
	v_add_f16_e32 v31, v31, v63
	;; [unrolled: 8-line block ×3, first 2 shown]
	ds_write_b16 v31, v32
	ds_write_b16 v31, v64 offset:6
	ds_write_b16 v31, v61 offset:12
	v_lshlrev_b32_e32 v32, 1, v38
	v_mul_u32_u24_e32 v33, 18, v37
	v_add3_u32 v32, 0, v33, v32
	v_add_f16_e32 v33, v51, v41
	v_add_f16_e32 v33, v33, v47
	ds_write_b16 v32, v33
	ds_write_b16 v32, v66 offset:6
	ds_write_b16 v32, v65 offset:12
	s_waitcnt lgkmcnt(0)
	; wave barrier
	s_waitcnt lgkmcnt(0)
	ds_read_u16 v33, v2
	ds_read_u16 v34, v2 offset:630
	ds_read_u16 v35, v2 offset:756
	;; [unrolled: 1-line block ×6, first 2 shown]
	ds_read_u16 v46, v13
	ds_read_u16 v49, v17
	ds_read_u16 v50, v2 offset:1386
	ds_read_u16 v51, v2 offset:1260
	;; [unrolled: 1-line block ×3, first 2 shown]
	ds_read_u16 v56, v12
	ds_read_u16 v57, v11
	ds_read_u16 v59, v2 offset:1764
	s_waitcnt lgkmcnt(0)
	; wave barrier
	s_waitcnt lgkmcnt(0)
	ds_write_b16 v28, v54
	ds_write_b16 v28, v39 offset:6
	ds_write_b16 v28, v19 offset:12
	v_add_f16_e32 v19, v62, v20
	v_add_f16_e32 v20, v20, v21
	;; [unrolled: 1-line block ×3, first 2 shown]
	v_fma_f16 v20, v20, -0.5, v62
	v_sub_f16_e32 v21, v43, v40
	v_fma_f16 v28, v21, s1, v20
	v_fma_f16 v20, v21, s0, v20
	ds_write_b16 v18, v19
	ds_write_b16 v18, v28 offset:6
	ds_write_b16 v18, v20 offset:12
	v_add_f16_e32 v19, v22, v23
	v_add_f16_e32 v18, v58, v22
	v_fma_f16 v19, v19, -0.5, v58
	v_sub_f16_e32 v20, v44, v63
	v_add_f16_e32 v18, v18, v23
	v_fma_f16 v21, v20, s1, v19
	v_fma_f16 v19, v20, s0, v19
	ds_write_b16 v29, v18
	ds_write_b16 v29, v21 offset:6
	ds_write_b16 v29, v19 offset:12
	v_add_f16_e32 v19, v24, v25
	v_add_f16_e32 v18, v52, v24
	v_fma_f16 v19, v19, -0.5, v52
	v_sub_f16_e32 v20, v48, v45
	v_add_f16_e32 v18, v18, v25
	v_fma_f16 v21, v20, s1, v19
	v_fma_f16 v19, v20, s0, v19
	ds_write_b16 v31, v18
	ds_write_b16 v31, v21 offset:6
	ds_write_b16 v31, v19 offset:12
	v_add_f16_e32 v18, v53, v26
	v_add_f16_e32 v19, v26, v27
	;; [unrolled: 1-line block ×3, first 2 shown]
	v_fma_f16 v19, v19, -0.5, v53
	v_sub_f16_e32 v20, v41, v47
	v_mov_b32_e32 v24, 57
	v_fma_f16 v21, v20, s1, v19
	v_fma_f16 v19, v20, s0, v19
	ds_write_b16 v32, v18
	ds_write_b16 v32, v21 offset:6
	ds_write_b16 v32, v19 offset:12
	v_mul_lo_u16_sdwa v18, v4, v24 dst_sel:DWORD dst_unused:UNUSED_PAD src0_sel:BYTE_0 src1_sel:DWORD
	v_lshrrev_b16_e32 v26, 9, v18
	v_mul_lo_u16_e32 v18, 9, v26
	v_sub_u16_e32 v27, v4, v18
	v_mul_lo_u16_sdwa v20, v3, v24 dst_sel:DWORD dst_unused:UNUSED_PAD src0_sel:BYTE_0 src1_sel:DWORD
	v_lshlrev_b32_sdwa v18, v30, v27 dst_sel:DWORD dst_unused:UNUSED_PAD src0_sel:DWORD src1_sel:BYTE_0
	v_lshrrev_b16_e32 v28, 9, v20
	s_waitcnt lgkmcnt(0)
	; wave barrier
	s_waitcnt lgkmcnt(0)
	global_load_dwordx2 v[18:19], v18, s[8:9] offset:24
	v_mul_lo_u16_e32 v20, 9, v28
	v_sub_u16_e32 v29, v3, v20
	v_mul_lo_u16_sdwa v22, v5, v24 dst_sel:DWORD dst_unused:UNUSED_PAD src0_sel:BYTE_0 src1_sel:DWORD
	v_lshlrev_b32_sdwa v20, v30, v29 dst_sel:DWORD dst_unused:UNUSED_PAD src0_sel:DWORD src1_sel:BYTE_0
	v_lshrrev_b16_e32 v31, 9, v22
	global_load_dwordx2 v[20:21], v20, s[8:9] offset:24
	v_mul_lo_u16_e32 v22, 9, v31
	v_mul_lo_u16_sdwa v24, v14, v24 dst_sel:DWORD dst_unused:UNUSED_PAD src0_sel:BYTE_0 src1_sel:DWORD
	v_sub_u16_e32 v32, v5, v22
	v_lshrrev_b16_e32 v39, 9, v24
	v_lshlrev_b32_sdwa v22, v30, v32 dst_sel:DWORD dst_unused:UNUSED_PAD src0_sel:DWORD src1_sel:BYTE_0
	v_mul_lo_u16_e32 v24, 9, v39
	global_load_dwordx2 v[22:23], v22, s[8:9] offset:24
	v_sub_u16_e32 v40, v14, v24
	v_lshlrev_b32_sdwa v14, v30, v40 dst_sel:DWORD dst_unused:UNUSED_PAD src0_sel:DWORD src1_sel:BYTE_0
	global_load_dwordx2 v[24:25], v14, s[8:9] offset:24
	v_mul_u32_u24_sdwa v14, v15, s4 dst_sel:DWORD dst_unused:UNUSED_PAD src0_sel:WORD_0 src1_sel:DWORD
	v_lshrrev_b32_e32 v30, 19, v14
	v_mul_lo_u16_e32 v14, 9, v30
	v_sub_u16_e32 v41, v15, v14
	v_lshlrev_b32_e32 v14, 3, v41
	global_load_dwordx2 v[14:15], v14, s[8:9] offset:24
	ds_read_u16 v43, v2 offset:630
	ds_read_u16 v44, v2 offset:756
	ds_read_u16 v45, v2 offset:882
	ds_read_u16 v47, v2 offset:1008
	ds_read_u16 v48, v2 offset:1386
	ds_read_u16 v52, v2 offset:1260
	ds_read_u16 v53, v2 offset:1134
	ds_read_u16 v54, v2
	v_lshlrev_b32_sdwa v27, v16, v27 dst_sel:DWORD dst_unused:UNUSED_PAD src0_sel:DWORD src1_sel:BYTE_0
	v_mul_u32_u24_e32 v26, 54, v26
	v_add3_u32 v26, 0, v26, v27
	v_mul_u32_u24_e32 v27, 54, v31
	s_waitcnt vmcnt(4) lgkmcnt(7)
	v_mul_f16_sdwa v58, v43, v18 dst_sel:DWORD dst_unused:UNUSED_PAD src0_sel:DWORD src1_sel:WORD_1
	v_fma_f16 v58, v34, v18, -v58
	v_mul_f16_sdwa v34, v34, v18 dst_sel:DWORD dst_unused:UNUSED_PAD src0_sel:DWORD src1_sel:WORD_1
	v_fma_f16 v18, v43, v18, v34
	s_waitcnt lgkmcnt(2)
	v_mul_f16_sdwa v34, v52, v19 dst_sel:DWORD dst_unused:UNUSED_PAD src0_sel:DWORD src1_sel:WORD_1
	v_mul_f16_sdwa v43, v51, v19 dst_sel:DWORD dst_unused:UNUSED_PAD src0_sel:DWORD src1_sel:WORD_1
	v_fma_f16 v34, v51, v19, -v34
	v_fma_f16 v19, v52, v19, v43
	s_waitcnt vmcnt(3)
	v_mul_f16_sdwa v43, v44, v20 dst_sel:DWORD dst_unused:UNUSED_PAD src0_sel:DWORD src1_sel:WORD_1
	v_fma_f16 v43, v35, v20, -v43
	v_mul_f16_sdwa v35, v35, v20 dst_sel:DWORD dst_unused:UNUSED_PAD src0_sel:DWORD src1_sel:WORD_1
	v_fma_f16 v20, v44, v20, v35
	v_mul_f16_sdwa v35, v48, v21 dst_sel:DWORD dst_unused:UNUSED_PAD src0_sel:DWORD src1_sel:WORD_1
	v_mul_f16_sdwa v44, v50, v21 dst_sel:DWORD dst_unused:UNUSED_PAD src0_sel:DWORD src1_sel:WORD_1
	v_fma_f16 v35, v50, v21, -v35
	v_fma_f16 v21, v48, v21, v44
	s_waitcnt vmcnt(2)
	v_mul_f16_sdwa v44, v45, v22 dst_sel:DWORD dst_unused:UNUSED_PAD src0_sel:DWORD src1_sel:WORD_1
	v_fma_f16 v44, v36, v22, -v44
	v_mul_f16_sdwa v36, v36, v22 dst_sel:DWORD dst_unused:UNUSED_PAD src0_sel:DWORD src1_sel:WORD_1
	v_fma_f16 v22, v45, v22, v36
	ds_read_u16 v36, v2 offset:1512
	ds_read_u16 v45, v2 offset:1638
	ds_read_u16 v48, v2 offset:1764
	ds_read_u16 v17, v17
	ds_read_u16 v50, v13
	;; [unrolled: 1-line block ×4, first 2 shown]
	s_waitcnt lgkmcnt(6)
	v_mul_f16_sdwa v60, v36, v23 dst_sel:DWORD dst_unused:UNUSED_PAD src0_sel:DWORD src1_sel:WORD_1
	v_fma_f16 v60, v38, v23, -v60
	v_mul_f16_sdwa v38, v38, v23 dst_sel:DWORD dst_unused:UNUSED_PAD src0_sel:DWORD src1_sel:WORD_1
	v_fma_f16 v23, v36, v23, v38
	s_waitcnt vmcnt(1)
	v_mul_f16_sdwa v36, v47, v24 dst_sel:DWORD dst_unused:UNUSED_PAD src0_sel:DWORD src1_sel:WORD_1
	v_fma_f16 v36, v37, v24, -v36
	v_mul_f16_sdwa v37, v37, v24 dst_sel:DWORD dst_unused:UNUSED_PAD src0_sel:DWORD src1_sel:WORD_1
	v_fma_f16 v24, v47, v24, v37
	s_waitcnt lgkmcnt(5)
	v_mul_f16_sdwa v37, v45, v25 dst_sel:DWORD dst_unused:UNUSED_PAD src0_sel:DWORD src1_sel:WORD_1
	v_mul_f16_sdwa v38, v42, v25 dst_sel:DWORD dst_unused:UNUSED_PAD src0_sel:DWORD src1_sel:WORD_1
	v_fma_f16 v37, v42, v25, -v37
	v_fma_f16 v25, v45, v25, v38
	s_waitcnt vmcnt(0)
	v_mul_f16_sdwa v38, v53, v14 dst_sel:DWORD dst_unused:UNUSED_PAD src0_sel:DWORD src1_sel:WORD_1
	v_mul_f16_sdwa v42, v55, v14 dst_sel:DWORD dst_unused:UNUSED_PAD src0_sel:DWORD src1_sel:WORD_1
	v_fma_f16 v38, v55, v14, -v38
	v_fma_f16 v42, v53, v14, v42
	s_waitcnt lgkmcnt(4)
	v_mul_f16_sdwa v14, v48, v15 dst_sel:DWORD dst_unused:UNUSED_PAD src0_sel:DWORD src1_sel:WORD_1
	v_fma_f16 v45, v59, v15, -v14
	v_mul_f16_sdwa v14, v59, v15 dst_sel:DWORD dst_unused:UNUSED_PAD src0_sel:DWORD src1_sel:WORD_1
	v_fma_f16 v15, v48, v15, v14
	v_add_f16_e32 v14, v58, v34
	v_fma_f16 v14, v14, -0.5, v33
	v_sub_f16_e32 v47, v18, v19
	v_fma_f16 v48, v47, s0, v14
	v_fma_f16 v14, v47, s1, v14
	v_add_f16_e32 v47, v54, v18
	v_add_f16_e32 v47, v47, v19
	;; [unrolled: 1-line block ×5, first 2 shown]
	v_fma_f16 v18, v18, -0.5, v54
	v_sub_f16_e32 v33, v58, v34
	s_waitcnt lgkmcnt(0)
	; wave barrier
	s_waitcnt lgkmcnt(0)
	ds_write_b16 v26, v19
	ds_write_b16 v26, v48 offset:18
	ds_write_b16 v26, v14 offset:36
	v_lshlrev_b32_sdwa v14, v16, v29 dst_sel:DWORD dst_unused:UNUSED_PAD src0_sel:DWORD src1_sel:BYTE_0
	v_mul_u32_u24_e32 v19, 54, v28
	v_fma_f16 v34, v33, s1, v18
	v_fma_f16 v18, v33, s0, v18
	v_add_f16_e32 v33, v43, v35
	v_add3_u32 v19, 0, v19, v14
	v_add_f16_e32 v14, v57, v43
	v_fma_f16 v33, v33, -0.5, v57
	v_sub_f16_e32 v53, v20, v21
	v_add_f16_e32 v14, v14, v35
	v_fma_f16 v54, v53, s0, v33
	v_fma_f16 v33, v53, s1, v33
	ds_write_b16 v19, v14
	ds_write_b16 v19, v54 offset:18
	ds_write_b16 v19, v33 offset:36
	v_lshlrev_b32_sdwa v14, v16, v32 dst_sel:DWORD dst_unused:UNUSED_PAD src0_sel:DWORD src1_sel:BYTE_0
	v_add_f16_e32 v53, v44, v60
	v_add3_u32 v27, 0, v27, v14
	v_add_f16_e32 v14, v56, v44
	v_fma_f16 v53, v53, -0.5, v56
	v_sub_f16_e32 v55, v22, v23
	v_add_f16_e32 v14, v14, v60
	v_fma_f16 v58, v55, s0, v53
	v_fma_f16 v53, v55, s1, v53
	ds_write_b16 v27, v14
	ds_write_b16 v27, v58 offset:18
	ds_write_b16 v27, v53 offset:36
	v_lshlrev_b32_sdwa v14, v16, v40 dst_sel:DWORD dst_unused:UNUSED_PAD src0_sel:DWORD src1_sel:BYTE_0
	v_mul_u32_u24_e32 v28, 54, v39
	v_add_f16_e32 v55, v36, v37
	v_add3_u32 v28, 0, v28, v14
	v_add_f16_e32 v14, v46, v36
	v_fma_f16 v55, v55, -0.5, v46
	v_sub_f16_e32 v59, v24, v25
	v_add_f16_e32 v14, v14, v37
	v_fma_f16 v61, v59, s0, v55
	v_fma_f16 v55, v59, s1, v55
	v_add_f16_e32 v59, v38, v45
	ds_write_b16 v28, v14
	ds_write_b16 v28, v61 offset:18
	ds_write_b16 v28, v55 offset:36
	v_lshlrev_b32_e32 v14, 1, v41
	v_mul_u32_u24_e32 v29, 54, v30
	v_fma_f16 v59, v59, -0.5, v49
	v_sub_f16_e32 v62, v42, v15
	v_add3_u32 v29, 0, v29, v14
	v_add_f16_e32 v14, v49, v38
	v_fma_f16 v63, v62, s0, v59
	v_fma_f16 v59, v62, s1, v59
	v_add_f16_e32 v14, v14, v45
	ds_write_b16 v29, v14
	ds_write_b16 v29, v63 offset:18
	ds_write_b16 v29, v59 offset:36
	s_waitcnt lgkmcnt(0)
	; wave barrier
	s_waitcnt lgkmcnt(0)
	ds_read_u16 v32, v2
	ds_read_u16 v33, v2 offset:504
	ds_read_u16 v39, v2 offset:1260
	ds_read_u16 v40, v2 offset:1134
	ds_read_u16 v48, v2 offset:1008
	ds_read_u16 v46, v2 offset:882
	ds_read_u16 v41, v2 offset:756
	ds_read_u16 v57, v2 offset:630
	ds_read_u16 v49, v13
	ds_read_u16 v14, v12
	ds_read_u16 v59, v11
	ds_read_u16 v58, v2 offset:1764
	ds_read_u16 v61, v2 offset:1638
	;; [unrolled: 1-line block ×4, first 2 shown]
	s_waitcnt lgkmcnt(0)
	; wave barrier
	s_waitcnt lgkmcnt(0)
	ds_write_b16 v26, v47
	ds_write_b16 v26, v34 offset:18
	ds_write_b16 v26, v18 offset:36
	v_add_f16_e32 v18, v52, v20
	v_add_f16_e32 v20, v20, v21
	;; [unrolled: 1-line block ×3, first 2 shown]
	v_fma_f16 v20, v20, -0.5, v52
	v_sub_f16_e32 v21, v43, v35
	v_fma_f16 v26, v21, s1, v20
	v_fma_f16 v20, v21, s0, v20
	ds_write_b16 v19, v18
	ds_write_b16 v19, v26 offset:18
	ds_write_b16 v19, v20 offset:36
	v_add_f16_e32 v19, v22, v23
	v_add_f16_e32 v18, v51, v22
	v_fma_f16 v19, v19, -0.5, v51
	v_sub_f16_e32 v20, v44, v60
	v_add_f16_e32 v18, v18, v23
	v_fma_f16 v21, v20, s1, v19
	v_fma_f16 v19, v20, s0, v19
	ds_write_b16 v27, v18
	ds_write_b16 v27, v21 offset:18
	ds_write_b16 v27, v19 offset:36
	v_add_f16_e32 v19, v24, v25
	v_fma_f16 v19, v19, -0.5, v50
	v_sub_f16_e32 v20, v36, v37
	v_fma_f16 v21, v20, s1, v19
	v_fma_f16 v19, v20, s0, v19
	v_add_f16_e32 v20, v17, v42
	v_add_f16_e32 v20, v20, v15
	v_add_f16_e32 v15, v42, v15
	v_add_f16_e32 v18, v50, v24
	v_fma_f16 v15, v15, -0.5, v17
	v_sub_f16_e32 v17, v38, v45
	v_add_f16_e32 v18, v18, v25
	v_fma_f16 v22, v17, s1, v15
	v_fma_f16 v15, v17, s0, v15
	ds_write_b16 v28, v18
	ds_write_b16 v28, v21 offset:18
	ds_write_b16 v28, v19 offset:36
	ds_write_b16 v29, v20
	ds_write_b16 v29, v22 offset:18
	ds_write_b16 v29, v15 offset:36
	v_mov_b32_e32 v15, 19
	v_mul_lo_u16_sdwa v17, v4, v15 dst_sel:DWORD dst_unused:UNUSED_PAD src0_sel:BYTE_0 src1_sel:DWORD
	v_lshrrev_b16_e32 v34, 9, v17
	v_mul_lo_u16_e32 v17, 27, v34
	v_sub_u16_e32 v60, v4, v17
	v_mov_b32_e32 v17, 4
	v_lshlrev_b32_sdwa v18, v17, v60 dst_sel:DWORD dst_unused:UNUSED_PAD src0_sel:DWORD src1_sel:BYTE_0
	s_waitcnt lgkmcnt(0)
	; wave barrier
	s_waitcnt lgkmcnt(0)
	global_load_dwordx4 v[20:23], v18, s[8:9] offset:96
	v_mul_lo_u16_sdwa v18, v3, v15 dst_sel:DWORD dst_unused:UNUSED_PAD src0_sel:BYTE_0 src1_sel:DWORD
	v_lshrrev_b16_e32 v63, 9, v18
	v_mul_lo_u16_e32 v18, 27, v63
	v_sub_u16_e32 v64, v3, v18
	v_lshlrev_b32_sdwa v18, v17, v64 dst_sel:DWORD dst_unused:UNUSED_PAD src0_sel:DWORD src1_sel:BYTE_0
	global_load_dwordx4 v[24:27], v18, s[8:9] offset:96
	v_mul_lo_u16_sdwa v15, v5, v15 dst_sel:DWORD dst_unused:UNUSED_PAD src0_sel:BYTE_0 src1_sel:DWORD
	v_lshrrev_b16_e32 v65, 9, v15
	v_mul_lo_u16_e32 v15, 27, v65
	v_sub_u16_e32 v66, v5, v15
	v_lshlrev_b32_sdwa v15, v17, v66 dst_sel:DWORD dst_unused:UNUSED_PAD src0_sel:DWORD src1_sel:BYTE_0
	global_load_dwordx4 v[28:31], v15, s[8:9] offset:96
	ds_read_u16 v13, v13
	ds_read_u16 v17, v12
	v_cmp_gt_u32_e64 s[0:1], 9, v4
	s_waitcnt vmcnt(2) lgkmcnt(1)
	v_mul_f16_sdwa v12, v13, v20 dst_sel:DWORD dst_unused:UNUSED_PAD src0_sel:DWORD src1_sel:WORD_1
	v_fma_f16 v44, v49, v20, -v12
	v_mul_f16_sdwa v12, v49, v20 dst_sel:DWORD dst_unused:UNUSED_PAD src0_sel:DWORD src1_sel:WORD_1
	v_fma_f16 v20, v13, v20, v12
	ds_read_u16 v12, v2 offset:756
	ds_read_u16 v13, v2 offset:882
	;; [unrolled: 1-line block ×6, first 2 shown]
	s_waitcnt lgkmcnt(5)
	v_mul_f16_sdwa v36, v12, v21 dst_sel:DWORD dst_unused:UNUSED_PAD src0_sel:DWORD src1_sel:WORD_1
	v_fma_f16 v50, v41, v21, -v36
	v_mul_f16_sdwa v36, v41, v21 dst_sel:DWORD dst_unused:UNUSED_PAD src0_sel:DWORD src1_sel:WORD_1
	v_fma_f16 v41, v12, v21, v36
	s_waitcnt lgkmcnt(1)
	v_mul_f16_sdwa v12, v15, v22 dst_sel:DWORD dst_unused:UNUSED_PAD src0_sel:DWORD src1_sel:WORD_1
	v_fma_f16 v52, v40, v22, -v12
	v_mul_f16_sdwa v12, v40, v22 dst_sel:DWORD dst_unused:UNUSED_PAD src0_sel:DWORD src1_sel:WORD_1
	v_fma_f16 v45, v15, v22, v12
	ds_read_u16 v12, v2 offset:1512
	ds_read_u16 v21, v2 offset:1638
	;; [unrolled: 1-line block ×3, first 2 shown]
	ds_read_u16 v15, v11
	ds_read_u16 v36, v2 offset:1386
	ds_read_u16 v38, v2 offset:504
	ds_read_u16 v55, v2
	s_waitcnt lgkmcnt(6)
	v_mul_f16_sdwa v37, v12, v23 dst_sel:DWORD dst_unused:UNUSED_PAD src0_sel:DWORD src1_sel:WORD_1
	v_fma_f16 v56, v53, v23, -v37
	v_mul_f16_sdwa v37, v53, v23 dst_sel:DWORD dst_unused:UNUSED_PAD src0_sel:DWORD src1_sel:WORD_1
	v_fma_f16 v53, v12, v23, v37
	s_waitcnt vmcnt(1) lgkmcnt(1)
	v_mul_f16_sdwa v12, v38, v24 dst_sel:DWORD dst_unused:UNUSED_PAD src0_sel:DWORD src1_sel:WORD_1
	v_fma_f16 v47, v33, v24, -v12
	v_mul_f16_sdwa v12, v33, v24 dst_sel:DWORD dst_unused:UNUSED_PAD src0_sel:DWORD src1_sel:WORD_1
	v_fma_f16 v37, v38, v24, v12
	v_mul_f16_sdwa v12, v13, v25 dst_sel:DWORD dst_unused:UNUSED_PAD src0_sel:DWORD src1_sel:WORD_1
	v_fma_f16 v49, v46, v25, -v12
	v_mul_f16_sdwa v12, v46, v25 dst_sel:DWORD dst_unused:UNUSED_PAD src0_sel:DWORD src1_sel:WORD_1
	v_fma_f16 v40, v13, v25, v12
	;; [unrolled: 4-line block ×4, first 2 shown]
	s_waitcnt vmcnt(0)
	v_mul_f16_sdwa v12, v35, v28 dst_sel:DWORD dst_unused:UNUSED_PAD src0_sel:DWORD src1_sel:WORD_1
	v_fma_f16 v38, v57, v28, -v12
	v_mul_f16_sdwa v12, v57, v28 dst_sel:DWORD dst_unused:UNUSED_PAD src0_sel:DWORD src1_sel:WORD_1
	v_fma_f16 v18, v35, v28, v12
	v_mul_f16_sdwa v12, v19, v29 dst_sel:DWORD dst_unused:UNUSED_PAD src0_sel:DWORD src1_sel:WORD_1
	v_fma_f16 v39, v48, v29, -v12
	v_mul_f16_sdwa v12, v48, v29 dst_sel:DWORD dst_unused:UNUSED_PAD src0_sel:DWORD src1_sel:WORD_1
	v_fma_f16 v19, v19, v29, v12
	;; [unrolled: 4-line block ×4, first 2 shown]
	v_sub_f16_e32 v12, v44, v50
	v_sub_f16_e32 v13, v56, v52
	v_add_f16_e32 v12, v12, v13
	v_add_f16_e32 v13, v50, v52
	v_fma_f16 v13, v13, -0.5, v32
	v_sub_f16_e32 v21, v20, v53
	v_fma_f16 v22, v21, s10, v13
	v_sub_f16_e32 v23, v41, v45
	v_fma_f16 v13, v21, s11, v13
	v_fma_f16 v22, v23, s6, v22
	v_fma_f16 v13, v23, s14, v13
	v_fma_f16 v22, v12, s7, v22
	v_fma_f16 v13, v12, s7, v13
	v_sub_f16_e32 v12, v50, v44
	v_sub_f16_e32 v24, v52, v56
	v_add_f16_e32 v12, v12, v24
	v_add_f16_e32 v24, v44, v56
	v_fma_f16 v24, v24, -0.5, v32
	v_fma_f16 v25, v23, s11, v24
	v_fma_f16 v23, v23, s10, v24
	v_fma_f16 v24, v21, s6, v25
	v_fma_f16 v21, v21, s14, v23
	v_fma_f16 v23, v12, s7, v24
	v_fma_f16 v21, v12, s7, v21
	v_sub_f16_e32 v12, v47, v49
	v_sub_f16_e32 v24, v54, v51
	v_add_f16_e32 v12, v12, v24
	v_add_f16_e32 v24, v49, v51
	v_fma_f16 v24, v24, -0.5, v59
	v_sub_f16_e32 v25, v37, v46
	v_fma_f16 v26, v25, s10, v24
	v_sub_f16_e32 v27, v40, v42
	v_fma_f16 v24, v25, s11, v24
	v_fma_f16 v26, v27, s6, v26
	v_fma_f16 v24, v27, s14, v24
	v_fma_f16 v26, v12, s7, v26
	v_fma_f16 v24, v12, s7, v24
	v_sub_f16_e32 v12, v49, v47
	v_sub_f16_e32 v28, v51, v54
	v_add_f16_e32 v12, v12, v28
	v_add_f16_e32 v28, v47, v54
	v_fma_f16 v28, v28, -0.5, v59
	v_fma_f16 v29, v27, s11, v28
	v_fma_f16 v27, v27, s10, v28
	v_fma_f16 v28, v25, s6, v29
	v_fma_f16 v25, v25, s14, v27
	v_fma_f16 v27, v12, s7, v28
	v_fma_f16 v25, v12, s7, v25
	;; [unrolled: 24-line block ×3, first 2 shown]
	v_mul_u32_u24_e32 v29, 0x10e, v34
	v_lshlrev_b32_sdwa v33, v16, v60 dst_sel:DWORD dst_unused:UNUSED_PAD src0_sel:DWORD src1_sel:BYTE_0
	v_add3_u32 v57, 0, v29, v33
	v_add_f16_e32 v29, v32, v44
	v_add_f16_e32 v29, v29, v50
	;; [unrolled: 1-line block ×4, first 2 shown]
	s_waitcnt lgkmcnt(0)
	; wave barrier
	s_waitcnt lgkmcnt(0)
	ds_write_b16 v57, v29
	ds_write_b16 v57, v22 offset:54
	ds_write_b16 v57, v23 offset:108
	;; [unrolled: 1-line block ×4, first 2 shown]
	v_mul_u32_u24_e32 v13, 0x10e, v63
	v_lshlrev_b32_sdwa v21, v16, v64 dst_sel:DWORD dst_unused:UNUSED_PAD src0_sel:DWORD src1_sel:BYTE_0
	v_add3_u32 v58, 0, v13, v21
	v_add_f16_e32 v13, v59, v47
	v_add_f16_e32 v13, v13, v49
	;; [unrolled: 1-line block ×4, first 2 shown]
	ds_write_b16 v58, v13
	ds_write_b16 v58, v26 offset:54
	ds_write_b16 v58, v27 offset:108
	;; [unrolled: 1-line block ×4, first 2 shown]
	v_lshlrev_b32_sdwa v13, v16, v66 dst_sel:DWORD dst_unused:UNUSED_PAD src0_sel:DWORD src1_sel:BYTE_0
	v_mul_u32_u24_e32 v16, 0x10e, v65
	v_add3_u32 v16, 0, v16, v13
	v_add_f16_e32 v13, v14, v38
	v_add_f16_e32 v13, v13, v39
	;; [unrolled: 1-line block ×4, first 2 shown]
	ds_write_b16 v16, v13
	ds_write_b16 v16, v30 offset:54
	ds_write_b16 v16, v31 offset:108
	ds_write_b16 v16, v28 offset:162
	ds_write_b16 v16, v12 offset:216
	s_waitcnt lgkmcnt(0)
	; wave barrier
	s_waitcnt lgkmcnt(0)
	ds_read_u16 v21, v2
	ds_read_u16 v24, v2 offset:270
	ds_read_u16 v23, v2 offset:1080
	ds_read_u16 v29, v2 offset:936
	ds_read_u16 v25, v2 offset:810
	ds_read_u16 v30, v2 offset:666
	ds_read_u16 v22, v2 offset:540
	ds_read_u16 v32, v2 offset:396
	ds_read_u16 v28, v11
	ds_read_u16 v33, v2 offset:1746
	ds_read_u16 v27, v2 offset:1620
	;; [unrolled: 1-line block ×5, first 2 shown]
	v_add_u32_e32 v59, v8, v10
	v_sub_u32_e32 v60, 0, v9
                                        ; implicit-def: $vgpr10
                                        ; implicit-def: $vgpr11
                                        ; implicit-def: $vgpr8
                                        ; implicit-def: $vgpr9
                                        ; implicit-def: $vgpr13
                                        ; implicit-def: $vgpr14
	s_and_saveexec_b64 s[4:5], s[0:1]
	s_cbranch_execz .LBB0_15
; %bb.14:
	ds_read_u16 v10, v2 offset:522
	ds_read_u16 v11, v2 offset:792
	;; [unrolled: 1-line block ×5, first 2 shown]
	ds_read_u16 v12, v59
	ds_read_u16 v9, v2 offset:1872
.LBB0_15:
	s_or_b64 exec, exec, s[4:5]
	v_add_f16_e32 v62, v41, v45
	v_fma_f16 v62, v62, -0.5, v55
	v_sub_f16_e32 v44, v44, v56
	v_fma_f16 v56, v44, s11, v62
	v_sub_f16_e32 v50, v50, v52
	v_fma_f16 v52, v50, s14, v56
	v_sub_f16_e32 v56, v20, v41
	v_sub_f16_e32 v63, v53, v45
	v_fma_f16 v62, v44, s10, v62
	v_add_f16_e32 v56, v56, v63
	v_fma_f16 v62, v50, s6, v62
	v_add_f16_e32 v61, v55, v20
	v_fma_f16 v52, v56, s7, v52
	v_fma_f16 v56, v56, s7, v62
	v_add_f16_e32 v62, v20, v53
	v_add_f16_e32 v61, v61, v41
	v_fma_f16 v55, v62, -0.5, v55
	v_add_f16_e32 v61, v61, v45
	v_fma_f16 v62, v50, s10, v55
	v_sub_f16_e32 v20, v41, v20
	v_sub_f16_e32 v41, v45, v53
	v_fma_f16 v45, v50, s11, v55
	v_fma_f16 v62, v44, s14, v62
	;; [unrolled: 1-line block ×3, first 2 shown]
	v_add_f16_e32 v45, v40, v42
	v_fma_f16 v45, v45, -0.5, v15
	v_sub_f16_e32 v47, v47, v54
	v_add_f16_e32 v61, v61, v53
	v_fma_f16 v50, v47, s11, v45
	v_sub_f16_e32 v49, v49, v51
	v_sub_f16_e32 v51, v37, v40
	;; [unrolled: 1-line block ×3, first 2 shown]
	v_fma_f16 v45, v47, s10, v45
	v_fma_f16 v50, v49, s14, v50
	v_add_f16_e32 v51, v51, v53
	v_fma_f16 v45, v49, s6, v45
	v_add_f16_e32 v20, v20, v41
	v_fma_f16 v50, v51, s7, v50
	v_fma_f16 v45, v51, s7, v45
	v_add_f16_e32 v51, v37, v46
	v_fma_f16 v41, v20, s7, v62
	v_fma_f16 v20, v20, s7, v44
	v_add_f16_e32 v44, v15, v37
	v_fma_f16 v15, v51, -0.5, v15
	v_add_f16_e32 v44, v44, v40
	v_fma_f16 v51, v49, s10, v15
	v_sub_f16_e32 v37, v40, v37
	v_sub_f16_e32 v40, v42, v46
	v_fma_f16 v15, v49, s11, v15
	v_fma_f16 v51, v47, s14, v51
	v_add_f16_e32 v37, v37, v40
	v_fma_f16 v15, v47, s6, v15
	v_fma_f16 v40, v37, s7, v51
	;; [unrolled: 1-line block ×3, first 2 shown]
	v_add_f16_e32 v15, v17, v18
	v_add_f16_e32 v15, v15, v19
	;; [unrolled: 1-line block ×6, first 2 shown]
	v_fma_f16 v15, v15, -0.5, v17
	v_sub_f16_e32 v38, v38, v48
	v_add_f16_e32 v44, v44, v46
	v_fma_f16 v46, v38, s11, v15
	v_sub_f16_e32 v39, v39, v43
	v_fma_f16 v43, v39, s14, v46
	v_sub_f16_e32 v46, v18, v19
	v_sub_f16_e32 v47, v36, v35
	v_fma_f16 v15, v38, s10, v15
	v_add_f16_e32 v46, v46, v47
	v_fma_f16 v15, v39, s6, v15
	v_fma_f16 v43, v46, s7, v43
	;; [unrolled: 1-line block ×3, first 2 shown]
	v_add_f16_e32 v46, v18, v36
	v_fma_f16 v17, v46, -0.5, v17
	v_fma_f16 v46, v39, s10, v17
	v_sub_f16_e32 v18, v19, v18
	v_sub_f16_e32 v19, v35, v36
	v_fma_f16 v17, v39, s11, v17
	v_fma_f16 v46, v38, s14, v46
	v_add_f16_e32 v18, v18, v19
	v_fma_f16 v17, v38, s6, v17
	v_fma_f16 v19, v18, s7, v46
	;; [unrolled: 1-line block ×3, first 2 shown]
	s_waitcnt lgkmcnt(0)
	; wave barrier
	s_waitcnt lgkmcnt(0)
	ds_write_b16 v57, v61
	ds_write_b16 v57, v52 offset:54
	ds_write_b16 v57, v41 offset:108
	ds_write_b16 v57, v20 offset:162
	ds_write_b16 v57, v56 offset:216
	ds_write_b16 v58, v44
	ds_write_b16 v58, v50 offset:54
	ds_write_b16 v58, v40 offset:108
	ds_write_b16 v58, v37 offset:162
	ds_write_b16 v58, v45 offset:216
	;; [unrolled: 5-line block ×3, first 2 shown]
	s_waitcnt lgkmcnt(0)
	; wave barrier
	s_waitcnt lgkmcnt(0)
	ds_read_u16 v35, v2
	ds_read_u16 v36, v2 offset:270
	v_add_u32_e32 v7, v7, v60
	ds_read_u16 v38, v2 offset:1080
	ds_read_u16 v44, v2 offset:936
	;; [unrolled: 1-line block ×6, first 2 shown]
	ds_read_u16 v42, v7
	ds_read_u16 v47, v2 offset:1746
	ds_read_u16 v41, v2 offset:1620
	;; [unrolled: 1-line block ×5, first 2 shown]
                                        ; implicit-def: $vgpr17
                                        ; implicit-def: $vgpr18
                                        ; implicit-def: $vgpr7
                                        ; implicit-def: $vgpr16
                                        ; implicit-def: $vgpr19
                                        ; implicit-def: $vgpr20
	s_and_saveexec_b64 s[4:5], s[0:1]
	s_cbranch_execz .LBB0_17
; %bb.16:
	ds_read_u16 v17, v2 offset:522
	ds_read_u16 v18, v2 offset:792
	;; [unrolled: 1-line block ×5, first 2 shown]
	ds_read_u16 v15, v59
	ds_read_u16 v16, v2 offset:1872
.LBB0_17:
	s_or_b64 exec, exec, s[4:5]
	s_and_saveexec_b64 s[4:5], vcc
	s_cbranch_execz .LBB0_20
; %bb.18:
	v_mul_i32_i24_e32 v2, 6, v3
	v_mov_b32_e32 v3, 0
	v_lshlrev_b64 v[49:50], 2, v[2:3]
	v_mov_b32_e32 v2, s9
	v_add_co_u32_e32 v53, vcc, s8, v49
	v_addc_co_u32_e32 v54, vcc, v2, v50, vcc
	global_load_dwordx4 v[49:52], v[53:54], off offset:528
	global_load_dwordx2 v[57:58], v[53:54], off offset:544
	v_mul_u32_u24_e32 v2, 6, v4
	v_lshlrev_b32_e32 v2, 2, v2
	global_load_dwordx4 v[53:56], v2, s[8:9] offset:528
	global_load_dwordx2 v[59:60], v2, s[8:9] offset:544
	s_movk_i32 s5, 0x3574
	s_movk_i32 s16, 0x3a52
	s_mov_b32 s6, 0xbcab
	s_movk_i32 s10, 0x3b00
	s_mov_b32 s11, 0xb574
	s_mov_b32 s14, 0xb9e0
	s_movk_i32 s15, 0x39e0
	s_movk_i32 s4, 0x370e
	v_add_co_u32_e32 v0, vcc, s12, v0
	s_movk_i32 s7, 0x2b26
	s_waitcnt vmcnt(3) lgkmcnt(6)
	v_mul_f16_sdwa v2, v45, v49 dst_sel:DWORD dst_unused:UNUSED_PAD src0_sel:DWORD src1_sel:WORD_1
	s_waitcnt vmcnt(2) lgkmcnt(4)
	v_mul_f16_sdwa v61, v47, v58 dst_sel:DWORD dst_unused:UNUSED_PAD src0_sel:DWORD src1_sel:WORD_1
	s_waitcnt lgkmcnt(0)
	v_mul_f16_sdwa v62, v48, v52 dst_sel:DWORD dst_unused:UNUSED_PAD src0_sel:DWORD src1_sel:WORD_1
	v_mul_f16_sdwa v63, v44, v51 dst_sel:DWORD dst_unused:UNUSED_PAD src0_sel:DWORD src1_sel:WORD_1
	;; [unrolled: 1-line block ×10, first 2 shown]
	v_fma_f16 v2, v32, v49, -v2
	v_fma_f16 v32, v33, v58, -v61
	;; [unrolled: 1-line block ×6, first 2 shown]
	v_fma_f16 v34, v47, v58, v66
	v_fma_f16 v45, v45, v49, v67
	;; [unrolled: 1-line block ×6, first 2 shown]
	v_sub_f16_e32 v48, v2, v32
	v_sub_f16_e32 v49, v33, v29
	;; [unrolled: 1-line block ×3, first 2 shown]
	v_add_f16_e32 v51, v45, v34
	v_add_f16_e32 v57, v43, v46
	;; [unrolled: 1-line block ×5, first 2 shown]
	v_sub_f16_e32 v31, v45, v34
	v_sub_f16_e32 v32, v47, v44
	;; [unrolled: 1-line block ×3, first 2 shown]
	v_add_f16_e32 v52, v47, v44
	v_add_f16_e32 v47, v51, v57
	;; [unrolled: 1-line block ×3, first 2 shown]
	v_sub_f16_e32 v62, v31, v32
	v_sub_f16_e32 v63, v32, v33
	v_add_f16_e32 v32, v32, v33
	v_sub_f16_e32 v34, v48, v49
	v_sub_f16_e32 v43, v49, v50
	v_add_f16_e32 v44, v49, v50
	v_sub_f16_e32 v45, v51, v52
	v_sub_f16_e32 v46, v52, v57
	;; [unrolled: 1-line block ×5, first 2 shown]
	v_add_f16_e32 v47, v52, v47
	v_add_f16_e32 v29, v29, v61
	;; [unrolled: 1-line block ×3, first 2 shown]
	v_sub_f16_e32 v31, v33, v31
	v_mul_f16_e32 v43, 0xb846, v43
	v_add_f16_e32 v44, v48, v44
	v_mul_f16_e32 v48, 0x3a52, v45
	v_mul_f16_e32 v46, 0x2b26, v46
	;; [unrolled: 1-line block ×5, first 2 shown]
	v_add_f16_e32 v42, v42, v47
	v_add_f16_e32 v28, v28, v29
	v_mul_f16_e32 v67, 0x3b00, v50
	v_sub_f16_e32 v51, v57, v51
	v_sub_f16_e32 v2, v30, v2
	v_mul_f16_e32 v33, 0x3b00, v31
	v_fma_f16 v63, v34, s5, v43
	v_fma_f16 v45, v45, s16, v46
	;; [unrolled: 1-line block ×4, first 2 shown]
	v_fma_f16 v34, v34, s11, -v67
	v_fma_f16 v48, v51, s14, -v48
	v_fma_f16 v30, v2, s14, -v52
	v_fma_f16 v33, v62, s11, -v33
	v_fma_f16 v31, v31, s10, -v61
	v_fma_f16 v2, v2, s15, -v58
	v_fma_f16 v49, v49, s16, v58
	v_fma_f16 v63, v44, s4, v63
	v_add_f16_e32 v45, v45, v47
	v_fma_f16 v34, v44, s4, v34
	v_add_f16_e32 v48, v48, v47
	v_add_f16_e32 v30, v30, v29
	v_fma_f16 v33, v32, s4, v33
	v_fma_f16 v46, v51, s15, -v46
	v_fma_f16 v31, v32, s4, v31
	v_add_f16_e32 v2, v2, v29
	v_add_f16_e32 v49, v49, v29
	;; [unrolled: 1-line block ×4, first 2 shown]
	v_sub_f16_e32 v52, v30, v33
	v_add_f16_e32 v46, v46, v47
	v_fma_f16 v43, v50, s10, -v43
	v_add_f16_e32 v29, v31, v2
	v_sub_f16_e32 v31, v2, v31
	v_sub_f16_e32 v34, v48, v34
	v_add_f16_e32 v30, v33, v30
	v_sub_f16_e32 v33, v45, v63
	s_waitcnt vmcnt(1)
	v_mul_f16_sdwa v2, v36, v53 dst_sel:DWORD dst_unused:UNUSED_PAD src0_sel:DWORD src1_sel:WORD_1
	s_waitcnt vmcnt(0)
	v_mul_f16_sdwa v45, v41, v60 dst_sel:DWORD dst_unused:UNUSED_PAD src0_sel:DWORD src1_sel:WORD_1
	v_mul_f16_sdwa v47, v38, v56 dst_sel:DWORD dst_unused:UNUSED_PAD src0_sel:DWORD src1_sel:WORD_1
	;; [unrolled: 1-line block ×5, first 2 shown]
	v_fma_f16 v64, v62, s5, v61
	v_fma_f16 v43, v44, s4, v43
	v_fma_f16 v2, v24, v53, -v2
	v_fma_f16 v45, v27, v60, -v45
	;; [unrolled: 1-line block ×6, first 2 shown]
	v_mul_f16_sdwa v27, v27, v60 dst_sel:DWORD dst_unused:UNUSED_PAD src0_sel:DWORD src1_sel:WORD_1
	v_mul_f16_sdwa v24, v24, v53 dst_sel:DWORD dst_unused:UNUSED_PAD src0_sel:DWORD src1_sel:WORD_1
	;; [unrolled: 1-line block ×6, first 2 shown]
	v_fma_f16 v64, v32, s4, v64
	v_sub_f16_e32 v44, v46, v43
	v_add_f16_e32 v32, v43, v46
	v_sub_f16_e32 v46, v2, v45
	v_sub_f16_e32 v61, v51, v58
	v_fma_f16 v27, v41, v60, v27
	v_fma_f16 v24, v36, v53, v24
	;; [unrolled: 1-line block ×6, first 2 shown]
	v_add_f16_e32 v2, v2, v45
	v_add_f16_e32 v51, v51, v58
	;; [unrolled: 1-line block ×7, first 2 shown]
	v_sub_f16_e32 v24, v24, v27
	v_sub_f16_e32 v23, v23, v25
	;; [unrolled: 1-line block ×4, first 2 shown]
	v_add_f16_e32 v43, v64, v49
	v_sub_f16_e32 v49, v47, v48
	v_sub_f16_e32 v47, v2, v45
	;; [unrolled: 1-line block ×3, first 2 shown]
	v_add_f16_e32 v45, v45, v55
	v_sub_f16_e32 v25, v24, v23
	v_sub_f16_e32 v26, v23, v22
	v_add_f16_e32 v23, v23, v22
	v_sub_f16_e32 v22, v22, v24
	v_sub_f16_e32 v40, v38, v37
	v_mul_f16_e32 v48, 0x3a52, v47
	v_mul_f16_e32 v54, 0x2b26, v54
	v_add_f16_e32 v55, v21, v45
	v_mul_f16_e32 v26, 0xb846, v26
	v_add_f16_e32 v23, v24, v23
	v_sub_f16_e32 v2, v51, v2
	v_mul_f16_e32 v24, 0x3b00, v22
	v_sub_f16_e32 v39, v36, v38
	v_mul_f16_e32 v40, 0x2b26, v40
	v_fma_f16 v47, v47, s16, v54
	v_fma_f16 v21, v45, s6, v55
	;; [unrolled: 1-line block ×3, first 2 shown]
	v_fma_f16 v48, v2, s14, -v48
	v_fma_f16 v24, v25, s11, -v24
	;; [unrolled: 1-line block ×4, first 2 shown]
	v_mul_f16_e32 v41, 0x3a52, v39
	v_fma_f16 v39, v39, s16, v40
	v_add_f16_e32 v53, v36, v37
	v_add_f16_e32 v45, v47, v21
	v_fma_f16 v27, v23, s4, v27
	v_add_f16_e32 v48, v48, v21
	v_fma_f16 v24, v23, s4, v24
	v_fma_f16 v23, v23, s4, v22
	v_add_f16_e32 v2, v2, v21
	v_mad_u64_u32 v[21:22], s[16:17], s2, v4, 0
	v_sub_f16_e32 v50, v46, v49
	v_sub_f16_e32 v62, v49, v61
	v_add_f16_e32 v49, v49, v61
	v_add_f16_e32 v38, v38, v53
	v_mul_f16_e32 v62, 0xb846, v62
	v_add_f16_e32 v49, v46, v49
	v_add_f16_e32 v35, v35, v38
	v_sub_f16_e32 v46, v61, v46
	v_sub_f16_e32 v36, v37, v36
	v_fma_f16 v38, v38, s6, v35
	v_fma_f16 v37, v36, s14, -v41
	v_fma_f16 v25, v36, s15, -v40
	;; [unrolled: 1-line block ×3, first 2 shown]
	v_mul_f16_e32 v56, 0x3b00, v46
	v_add_f16_e32 v25, v25, v38
	v_fma_f16 v36, v49, s4, v36
	v_add_f16_e32 v40, v23, v2
	v_sub_f16_e32 v46, v2, v23
	v_mov_b32_e32 v2, v22
	v_add_f16_e32 v39, v39, v38
	v_add_f16_e32 v37, v37, v38
	v_sub_f16_e32 v38, v25, v36
	v_add_f16_e32 v36, v36, v25
	v_mad_u64_u32 v[22:23], s[16:17], s3, v4, v[2:3]
	v_add_u32_e32 v25, 0x87, v4
	v_sub_f16_e32 v51, v48, v24
	v_add_f16_e32 v48, v24, v48
	v_mad_u64_u32 v[23:24], s[16:17], s2, v25, 0
	v_mov_b32_e32 v2, s13
	v_addc_co_u32_e32 v1, vcc, v2, v1, vcc
	v_mov_b32_e32 v2, v24
	v_lshlrev_b64 v[21:22], 2, v[21:22]
	v_mad_u64_u32 v[24:25], s[12:13], s3, v25, v[2:3]
	v_add_co_u32_e32 v21, vcc, v0, v21
	v_addc_co_u32_e32 v22, vcc, v1, v22, vcc
	v_pack_b32_f16 v2, v55, v35
	v_add_u32_e32 v25, 0x10e, v4
	global_store_dword v[21:22], v2, off
	v_lshlrev_b64 v[21:22], 2, v[23:24]
	v_mad_u64_u32 v[23:24], s[12:13], s2, v25, 0
	v_fma_f16 v63, v50, s5, v62
	v_fma_f16 v63, v49, s4, v63
	v_mov_b32_e32 v2, v24
	v_sub_f16_e32 v47, v45, v27
	v_sub_f16_e32 v26, v39, v63
	v_add_f16_e32 v27, v27, v45
	v_mad_u64_u32 v[24:25], s[12:13], s3, v25, v[2:3]
	v_add_u32_e32 v35, 0x195, v4
	v_pack_b32_f16 v27, v27, v26
	v_mad_u64_u32 v[25:26], s[12:13], s2, v35, 0
	v_add_co_u32_e32 v21, vcc, v0, v21
	v_addc_co_u32_e32 v22, vcc, v1, v22, vcc
	v_mov_b32_e32 v2, v26
	global_store_dword v[21:22], v27, off
	v_lshlrev_b64 v[21:22], 2, v[23:24]
	v_mad_u64_u32 v[23:24], s[12:13], s3, v35, v[2:3]
	v_fma_f16 v50, v50, s11, -v56
	v_fma_f16 v50, v49, s4, v50
	v_add_f16_e32 v41, v50, v37
	v_sub_f16_e32 v37, v37, v50
	v_add_co_u32_e32 v21, vcc, v0, v21
	v_addc_co_u32_e32 v22, vcc, v1, v22, vcc
	v_pack_b32_f16 v2, v48, v37
	v_mov_b32_e32 v26, v23
	global_store_dword v[21:22], v2, off
	v_lshlrev_b64 v[21:22], 2, v[25:26]
	v_add_u32_e32 v25, 0x21c, v4
	v_mad_u64_u32 v[23:24], s[12:13], s2, v25, 0
	v_add_u32_e32 v35, 0x2a3, v4
	v_add_co_u32_e32 v21, vcc, v0, v21
	v_mov_b32_e32 v2, v24
	v_mad_u64_u32 v[24:25], s[12:13], s3, v25, v[2:3]
	v_mad_u64_u32 v[25:26], s[12:13], s2, v35, 0
	v_addc_co_u32_e32 v22, vcc, v1, v22, vcc
	v_pack_b32_f16 v27, v46, v36
	v_mov_b32_e32 v2, v26
	global_store_dword v[21:22], v27, off
	v_lshlrev_b64 v[21:22], 2, v[23:24]
	v_mad_u64_u32 v[23:24], s[12:13], s3, v35, v[2:3]
	v_add_co_u32_e32 v21, vcc, v0, v21
	v_addc_co_u32_e32 v22, vcc, v1, v22, vcc
	v_pack_b32_f16 v2, v40, v38
	v_mov_b32_e32 v26, v23
	global_store_dword v[21:22], v2, off
	v_lshlrev_b64 v[21:22], 2, v[25:26]
	v_add_u32_e32 v25, 0x32a, v4
	v_mad_u64_u32 v[23:24], s[12:13], s2, v25, 0
	v_add_co_u32_e32 v21, vcc, v0, v21
	v_mov_b32_e32 v2, v24
	v_mad_u64_u32 v[24:25], s[12:13], s3, v25, v[2:3]
	v_mad_u64_u32 v[25:26], s[12:13], s2, v6, 0
	v_addc_co_u32_e32 v22, vcc, v1, v22, vcc
	v_pack_b32_f16 v27, v51, v41
	v_mov_b32_e32 v2, v26
	global_store_dword v[21:22], v27, off
	v_lshlrev_b64 v[21:22], 2, v[23:24]
	v_mad_u64_u32 v[23:24], s[12:13], s3, v6, v[2:3]
	v_add_u32_e32 v6, 0xc6, v4
	v_add_f16_e32 v53, v63, v39
	v_mov_b32_e32 v26, v23
	v_mad_u64_u32 v[23:24], s[12:13], s2, v6, 0
	v_add_co_u32_e32 v21, vcc, v0, v21
	v_addc_co_u32_e32 v22, vcc, v1, v22, vcc
	v_pack_b32_f16 v2, v47, v53
	global_store_dword v[21:22], v2, off
	v_mov_b32_e32 v2, v24
	v_lshlrev_b64 v[21:22], 2, v[25:26]
	v_mad_u64_u32 v[24:25], s[12:13], s3, v6, v[2:3]
	v_add_u32_e32 v6, 0x14d, v4
	v_mad_u64_u32 v[25:26], s[12:13], s2, v6, 0
	v_add_co_u32_e32 v21, vcc, v0, v21
	v_addc_co_u32_e32 v22, vcc, v1, v22, vcc
	v_pack_b32_f16 v27, v28, v42
	v_mov_b32_e32 v2, v26
	global_store_dword v[21:22], v27, off
	v_lshlrev_b64 v[21:22], 2, v[23:24]
	v_mad_u64_u32 v[23:24], s[12:13], s3, v6, v[2:3]
	v_add_u32_e32 v6, 0x1d4, v4
	v_add_co_u32_e32 v21, vcc, v0, v21
	v_mov_b32_e32 v26, v23
	v_mad_u64_u32 v[23:24], s[12:13], s2, v6, 0
	v_addc_co_u32_e32 v22, vcc, v1, v22, vcc
	v_pack_b32_f16 v2, v43, v33
	global_store_dword v[21:22], v2, off
	v_mov_b32_e32 v2, v24
	v_lshlrev_b64 v[21:22], 2, v[25:26]
	v_mad_u64_u32 v[24:25], s[12:13], s3, v6, v[2:3]
	v_add_u32_e32 v6, 0x25b, v4
	v_mad_u64_u32 v[25:26], s[12:13], s2, v6, 0
	v_add_co_u32_e32 v21, vcc, v0, v21
	v_addc_co_u32_e32 v22, vcc, v1, v22, vcc
	v_pack_b32_f16 v27, v30, v34
	v_mov_b32_e32 v2, v26
	global_store_dword v[21:22], v27, off
	v_lshlrev_b64 v[21:22], 2, v[23:24]
	v_mad_u64_u32 v[23:24], s[12:13], s3, v6, v[2:3]
	v_add_u32_e32 v6, 0x2e2, v4
	v_add_co_u32_e32 v21, vcc, v0, v21
	v_mov_b32_e32 v26, v23
	v_mad_u64_u32 v[23:24], s[12:13], s2, v6, 0
	v_addc_co_u32_e32 v22, vcc, v1, v22, vcc
	v_pack_b32_f16 v2, v31, v32
	global_store_dword v[21:22], v2, off
	v_mov_b32_e32 v2, v24
	v_lshlrev_b64 v[21:22], 2, v[25:26]
	v_mad_u64_u32 v[24:25], s[12:13], s3, v6, v[2:3]
	v_add_u32_e32 v6, 0x369, v4
	v_mad_u64_u32 v[25:26], s[12:13], s2, v6, 0
	v_add_co_u32_e32 v21, vcc, v0, v21
	v_addc_co_u32_e32 v22, vcc, v1, v22, vcc
	v_pack_b32_f16 v27, v29, v44
	v_mov_b32_e32 v2, v26
	global_store_dword v[21:22], v27, off
	v_lshlrev_b64 v[21:22], 2, v[23:24]
	v_mad_u64_u32 v[23:24], s[12:13], s3, v6, v[2:3]
	v_add_co_u32_e32 v21, vcc, v0, v21
	v_addc_co_u32_e32 v22, vcc, v1, v22, vcc
	v_pack_b32_f16 v2, v52, v57
	v_mov_b32_e32 v26, v23
	global_store_dword v[21:22], v2, off
	v_lshlrev_b64 v[21:22], 2, v[25:26]
	v_pack_b32_f16 v2, v66, v65
	v_add_co_u32_e32 v21, vcc, v0, v21
	v_addc_co_u32_e32 v22, vcc, v1, v22, vcc
	global_store_dword v[21:22], v2, off
	s_and_b64 exec, exec, s[0:1]
	s_cbranch_execz .LBB0_20
; %bb.19:
	v_add_u32_e32 v2, -9, v4
	v_cndmask_b32_e64 v2, v2, v5, s[0:1]
	v_mul_i32_i24_e32 v2, 6, v2
	v_lshlrev_b64 v[2:3], 2, v[2:3]
	v_mov_b32_e32 v5, s9
	v_add_co_u32_e32 v2, vcc, s8, v2
	v_addc_co_u32_e32 v3, vcc, v5, v3, vcc
	global_load_dwordx4 v[21:24], v[2:3], off offset:528
	global_load_dwordx2 v[5:6], v[2:3], off offset:544
	s_waitcnt vmcnt(1)
	v_mul_f16_sdwa v2, v17, v21 dst_sel:DWORD dst_unused:UNUSED_PAD src0_sel:DWORD src1_sel:WORD_1
	v_mul_f16_sdwa v3, v10, v21 dst_sel:DWORD dst_unused:UNUSED_PAD src0_sel:DWORD src1_sel:WORD_1
	;; [unrolled: 1-line block ×4, first 2 shown]
	s_waitcnt vmcnt(0)
	v_mul_f16_sdwa v31, v19, v5 dst_sel:DWORD dst_unused:UNUSED_PAD src0_sel:DWORD src1_sel:WORD_1
	v_mul_f16_sdwa v32, v13, v5 dst_sel:DWORD dst_unused:UNUSED_PAD src0_sel:DWORD src1_sel:WORD_1
	;; [unrolled: 1-line block ×8, first 2 shown]
	v_fma_f16 v2, v10, v21, -v2
	v_fma_f16 v3, v17, v21, v3
	v_fma_f16 v10, v11, v22, -v25
	v_fma_f16 v11, v18, v22, v26
	;; [unrolled: 2-line block ×6, first 2 shown]
	v_add_f16_e32 v16, v2, v9
	v_add_f16_e32 v18, v3, v6
	v_sub_f16_e32 v2, v2, v9
	v_sub_f16_e32 v3, v3, v6
	v_add_f16_e32 v6, v10, v13
	v_add_f16_e32 v9, v11, v5
	v_sub_f16_e32 v10, v10, v13
	v_sub_f16_e32 v5, v11, v5
	;; [unrolled: 4-line block ×4, first 2 shown]
	v_sub_f16_e32 v16, v16, v11
	v_sub_f16_e32 v18, v18, v13
	;; [unrolled: 1-line block ×4, first 2 shown]
	v_add_f16_e32 v21, v8, v10
	v_add_f16_e32 v22, v7, v5
	v_sub_f16_e32 v23, v8, v10
	v_sub_f16_e32 v24, v7, v5
	;; [unrolled: 1-line block ×4, first 2 shown]
	v_add_f16_e32 v11, v11, v14
	v_add_f16_e32 v13, v13, v17
	v_sub_f16_e32 v8, v2, v8
	v_sub_f16_e32 v7, v3, v7
	v_add_f16_e32 v2, v21, v2
	v_add_f16_e32 v3, v22, v3
	v_mul_f16_e32 v14, 0x3a52, v16
	v_mul_f16_e32 v16, 0x3a52, v18
	v_mul_f16_e32 v17, 0x2b26, v6
	v_mul_f16_e32 v18, 0x2b26, v9
	v_mul_f16_e32 v21, 0xb846, v23
	v_mul_f16_e32 v22, 0xb846, v24
	v_mul_f16_e32 v23, 0x3b00, v10
	v_mul_f16_e32 v24, 0x3b00, v5
	v_add_f16_e32 v12, v12, v11
	v_add_f16_e32 v15, v15, v13
	v_fma_f16 v6, v6, s7, v14
	v_fma_f16 v9, v9, s7, v16
	v_fma_f16 v17, v19, s15, -v17
	v_fma_f16 v18, v20, s15, -v18
	;; [unrolled: 1-line block ×4, first 2 shown]
	v_fma_f16 v19, v8, s5, v21
	v_fma_f16 v20, v7, s5, v22
	v_fma_f16 v10, v10, s10, -v21
	v_fma_f16 v5, v5, s10, -v22
	v_fma_f16 v8, v8, s11, -v23
	v_fma_f16 v7, v7, s11, -v24
	v_fma_f16 v11, v11, s6, v12
	v_fma_f16 v13, v13, s6, v15
	v_add_u32_e32 v25, 0x7e, v4
	v_add_f16_e32 v21, v6, v11
	v_add_f16_e32 v9, v9, v13
	;; [unrolled: 1-line block ×6, first 2 shown]
	v_fma_f16 v14, v2, s4, v19
	v_fma_f16 v16, v3, s4, v20
	v_fma_f16 v10, v2, s4, v10
	v_fma_f16 v5, v3, s4, v5
	v_fma_f16 v8, v2, s4, v8
	v_fma_f16 v7, v3, s4, v7
	v_mad_u64_u32 v[2:3], s[0:1], s2, v25, 0
	v_sub_f16_e32 v23, v6, v5
	v_add_f16_e32 v26, v5, v6
	v_mad_u64_u32 v[5:6], s[0:1], s3, v25, v[3:4]
	v_add_f16_e32 v20, v7, v11
	v_sub_f16_e32 v11, v11, v7
	v_add_u32_e32 v7, 0x105, v4
	v_mov_b32_e32 v3, v5
	v_mad_u64_u32 v[5:6], s[0:1], s2, v7, 0
	v_sub_f16_e32 v19, v9, v14
	v_add_f16_e32 v9, v14, v9
	v_mad_u64_u32 v[6:7], s[0:1], s3, v7, v[6:7]
	v_add_u32_e32 v14, 0x18c, v4
	v_sub_f16_e32 v22, v13, v8
	v_add_f16_e32 v13, v8, v13
	v_lshlrev_b64 v[2:3], 2, v[2:3]
	v_mad_u64_u32 v[7:8], s[0:1], s2, v14, 0
	v_add_co_u32_e32 v2, vcc, v0, v2
	v_addc_co_u32_e32 v3, vcc, v1, v3, vcc
	v_pack_b32_f16 v12, v12, v15
	global_store_dword v[2:3], v12, off
	v_lshlrev_b64 v[2:3], 2, v[5:6]
	v_mov_b32_e32 v5, v8
	v_mad_u64_u32 v[5:6], s[0:1], s3, v14, v[5:6]
	v_add_f16_e32 v18, v16, v21
	v_add_co_u32_e32 v2, vcc, v0, v2
	v_addc_co_u32_e32 v3, vcc, v1, v3, vcc
	v_pack_b32_f16 v6, v18, v19
	v_mov_b32_e32 v8, v5
	global_store_dword v[2:3], v6, off
	v_lshlrev_b64 v[2:3], 2, v[7:8]
	v_add_u32_e32 v7, 0x213, v4
	v_mad_u64_u32 v[5:6], s[0:1], s2, v7, 0
	v_add_u32_e32 v14, 0x29a, v4
	v_add_co_u32_e32 v2, vcc, v0, v2
	v_mad_u64_u32 v[6:7], s[0:1], s3, v7, v[6:7]
	v_mad_u64_u32 v[7:8], s[0:1], s2, v14, 0
	v_addc_co_u32_e32 v3, vcc, v1, v3, vcc
	v_pack_b32_f16 v12, v20, v22
	global_store_dword v[2:3], v12, off
	v_lshlrev_b64 v[2:3], 2, v[5:6]
	v_mov_b32_e32 v5, v8
	v_mad_u64_u32 v[5:6], s[0:1], s3, v14, v[5:6]
	v_add_f16_e32 v24, v10, v17
	v_add_co_u32_e32 v2, vcc, v0, v2
	v_addc_co_u32_e32 v3, vcc, v1, v3, vcc
	v_pack_b32_f16 v6, v23, v24
	v_mov_b32_e32 v8, v5
	global_store_dword v[2:3], v6, off
	v_lshlrev_b64 v[2:3], 2, v[7:8]
	v_add_u32_e32 v7, 0x321, v4
	v_mad_u64_u32 v[5:6], s[0:1], s2, v7, 0
	v_add_u32_e32 v12, 0x3a8, v4
	v_sub_f16_e32 v10, v17, v10
	v_mad_u64_u32 v[6:7], s[0:1], s3, v7, v[6:7]
	v_mad_u64_u32 v[7:8], s[0:1], s2, v12, 0
	v_add_co_u32_e32 v2, vcc, v0, v2
	v_addc_co_u32_e32 v3, vcc, v1, v3, vcc
	v_pack_b32_f16 v10, v26, v10
	v_mov_b32_e32 v4, v8
	global_store_dword v[2:3], v10, off
	v_lshlrev_b64 v[2:3], 2, v[5:6]
	v_mad_u64_u32 v[4:5], s[0:1], s3, v12, v[4:5]
	v_add_co_u32_e32 v2, vcc, v0, v2
	v_addc_co_u32_e32 v3, vcc, v1, v3, vcc
	v_pack_b32_f16 v5, v11, v13
	v_mov_b32_e32 v8, v4
	global_store_dword v[2:3], v5, off
	v_lshlrev_b64 v[2:3], 2, v[7:8]
	v_sub_f16_e32 v16, v21, v16
	v_add_co_u32_e32 v0, vcc, v0, v2
	v_addc_co_u32_e32 v1, vcc, v1, v3, vcc
	v_pack_b32_f16 v2, v16, v9
	global_store_dword v[0:1], v2, off
.LBB0_20:
	s_endpgm
	.section	.rodata,"a",@progbits
	.p2align	6, 0x0
	.amdhsa_kernel fft_rtc_fwd_len945_factors_3_3_3_5_7_wgs_63_tpt_63_halfLds_half_ip_CI_sbrr_dirReg
		.amdhsa_group_segment_fixed_size 0
		.amdhsa_private_segment_fixed_size 0
		.amdhsa_kernarg_size 88
		.amdhsa_user_sgpr_count 6
		.amdhsa_user_sgpr_private_segment_buffer 1
		.amdhsa_user_sgpr_dispatch_ptr 0
		.amdhsa_user_sgpr_queue_ptr 0
		.amdhsa_user_sgpr_kernarg_segment_ptr 1
		.amdhsa_user_sgpr_dispatch_id 0
		.amdhsa_user_sgpr_flat_scratch_init 0
		.amdhsa_user_sgpr_private_segment_size 0
		.amdhsa_uses_dynamic_stack 0
		.amdhsa_system_sgpr_private_segment_wavefront_offset 0
		.amdhsa_system_sgpr_workgroup_id_x 1
		.amdhsa_system_sgpr_workgroup_id_y 0
		.amdhsa_system_sgpr_workgroup_id_z 0
		.amdhsa_system_sgpr_workgroup_info 0
		.amdhsa_system_vgpr_workitem_id 0
		.amdhsa_next_free_vgpr 72
		.amdhsa_next_free_sgpr 24
		.amdhsa_reserve_vcc 1
		.amdhsa_reserve_flat_scratch 0
		.amdhsa_float_round_mode_32 0
		.amdhsa_float_round_mode_16_64 0
		.amdhsa_float_denorm_mode_32 3
		.amdhsa_float_denorm_mode_16_64 3
		.amdhsa_dx10_clamp 1
		.amdhsa_ieee_mode 1
		.amdhsa_fp16_overflow 0
		.amdhsa_exception_fp_ieee_invalid_op 0
		.amdhsa_exception_fp_denorm_src 0
		.amdhsa_exception_fp_ieee_div_zero 0
		.amdhsa_exception_fp_ieee_overflow 0
		.amdhsa_exception_fp_ieee_underflow 0
		.amdhsa_exception_fp_ieee_inexact 0
		.amdhsa_exception_int_div_zero 0
	.end_amdhsa_kernel
	.text
.Lfunc_end0:
	.size	fft_rtc_fwd_len945_factors_3_3_3_5_7_wgs_63_tpt_63_halfLds_half_ip_CI_sbrr_dirReg, .Lfunc_end0-fft_rtc_fwd_len945_factors_3_3_3_5_7_wgs_63_tpt_63_halfLds_half_ip_CI_sbrr_dirReg
                                        ; -- End function
	.section	.AMDGPU.csdata,"",@progbits
; Kernel info:
; codeLenInByte = 12004
; NumSgprs: 28
; NumVgprs: 72
; ScratchSize: 0
; MemoryBound: 0
; FloatMode: 240
; IeeeMode: 1
; LDSByteSize: 0 bytes/workgroup (compile time only)
; SGPRBlocks: 3
; VGPRBlocks: 17
; NumSGPRsForWavesPerEU: 28
; NumVGPRsForWavesPerEU: 72
; Occupancy: 3
; WaveLimiterHint : 1
; COMPUTE_PGM_RSRC2:SCRATCH_EN: 0
; COMPUTE_PGM_RSRC2:USER_SGPR: 6
; COMPUTE_PGM_RSRC2:TRAP_HANDLER: 0
; COMPUTE_PGM_RSRC2:TGID_X_EN: 1
; COMPUTE_PGM_RSRC2:TGID_Y_EN: 0
; COMPUTE_PGM_RSRC2:TGID_Z_EN: 0
; COMPUTE_PGM_RSRC2:TIDIG_COMP_CNT: 0
	.type	__hip_cuid_cfe1ef66889a74d4,@object ; @__hip_cuid_cfe1ef66889a74d4
	.section	.bss,"aw",@nobits
	.globl	__hip_cuid_cfe1ef66889a74d4
__hip_cuid_cfe1ef66889a74d4:
	.byte	0                               ; 0x0
	.size	__hip_cuid_cfe1ef66889a74d4, 1

	.ident	"AMD clang version 19.0.0git (https://github.com/RadeonOpenCompute/llvm-project roc-6.4.0 25133 c7fe45cf4b819c5991fe208aaa96edf142730f1d)"
	.section	".note.GNU-stack","",@progbits
	.addrsig
	.addrsig_sym __hip_cuid_cfe1ef66889a74d4
	.amdgpu_metadata
---
amdhsa.kernels:
  - .args:
      - .actual_access:  read_only
        .address_space:  global
        .offset:         0
        .size:           8
        .value_kind:     global_buffer
      - .offset:         8
        .size:           8
        .value_kind:     by_value
      - .actual_access:  read_only
        .address_space:  global
        .offset:         16
        .size:           8
        .value_kind:     global_buffer
      - .actual_access:  read_only
        .address_space:  global
        .offset:         24
        .size:           8
        .value_kind:     global_buffer
      - .offset:         32
        .size:           8
        .value_kind:     by_value
      - .actual_access:  read_only
        .address_space:  global
        .offset:         40
        .size:           8
        .value_kind:     global_buffer
      - .actual_access:  read_only
        .address_space:  global
        .offset:         48
        .size:           8
        .value_kind:     global_buffer
      - .offset:         56
        .size:           4
        .value_kind:     by_value
      - .actual_access:  read_only
        .address_space:  global
        .offset:         64
        .size:           8
        .value_kind:     global_buffer
      - .actual_access:  read_only
        .address_space:  global
        .offset:         72
        .size:           8
        .value_kind:     global_buffer
      - .address_space:  global
        .offset:         80
        .size:           8
        .value_kind:     global_buffer
    .group_segment_fixed_size: 0
    .kernarg_segment_align: 8
    .kernarg_segment_size: 88
    .language:       OpenCL C
    .language_version:
      - 2
      - 0
    .max_flat_workgroup_size: 63
    .name:           fft_rtc_fwd_len945_factors_3_3_3_5_7_wgs_63_tpt_63_halfLds_half_ip_CI_sbrr_dirReg
    .private_segment_fixed_size: 0
    .sgpr_count:     28
    .sgpr_spill_count: 0
    .symbol:         fft_rtc_fwd_len945_factors_3_3_3_5_7_wgs_63_tpt_63_halfLds_half_ip_CI_sbrr_dirReg.kd
    .uniform_work_group_size: 1
    .uses_dynamic_stack: false
    .vgpr_count:     72
    .vgpr_spill_count: 0
    .wavefront_size: 64
amdhsa.target:   amdgcn-amd-amdhsa--gfx906
amdhsa.version:
  - 1
  - 2
...

	.end_amdgpu_metadata
